;; amdgpu-corpus repo=ROCm/rocFFT kind=compiled arch=gfx90a opt=O3
	.text
	.amdgcn_target "amdgcn-amd-amdhsa--gfx90a"
	.amdhsa_code_object_version 6
	.protected	fft_rtc_back_len208_factors_2_8_13_wgs_247_tpt_13_dim3_sp_ip_CI_sbcc_twdbase8_3step_dirReg_intrinsicReadWrite ; -- Begin function fft_rtc_back_len208_factors_2_8_13_wgs_247_tpt_13_dim3_sp_ip_CI_sbcc_twdbase8_3step_dirReg_intrinsicReadWrite
	.globl	fft_rtc_back_len208_factors_2_8_13_wgs_247_tpt_13_dim3_sp_ip_CI_sbcc_twdbase8_3step_dirReg_intrinsicReadWrite
	.p2align	8
	.type	fft_rtc_back_len208_factors_2_8_13_wgs_247_tpt_13_dim3_sp_ip_CI_sbcc_twdbase8_3step_dirReg_intrinsicReadWrite,@function
fft_rtc_back_len208_factors_2_8_13_wgs_247_tpt_13_dim3_sp_ip_CI_sbcc_twdbase8_3step_dirReg_intrinsicReadWrite: ; @fft_rtc_back_len208_factors_2_8_13_wgs_247_tpt_13_dim3_sp_ip_CI_sbcc_twdbase8_3step_dirReg_intrinsicReadWrite
; %bb.0:
	s_load_dwordx4 s[0:3], s[4:5], 0x10
	s_mov_b32 s7, 0
	s_mov_b64 s[20:21], 0
	s_waitcnt lgkmcnt(0)
	s_load_dwordx2 s[10:11], s[0:1], 0x8
	s_waitcnt lgkmcnt(0)
	s_add_u32 s8, s10, -1
	s_addc_u32 s9, s11, -1
	s_add_u32 s12, 0, 0x50d6f500
	s_addc_u32 s13, 0, 46
	s_mul_hi_u32 s15, s12, 0xffffffed
	s_add_i32 s13, s13, 0xd794330
	s_sub_i32 s15, s15, s12
	s_mul_i32 s18, s13, 0xffffffed
	s_mul_i32 s14, s12, 0xffffffed
	s_add_i32 s15, s15, s18
	s_mul_hi_u32 s16, s13, s14
	s_mul_i32 s17, s13, s14
	s_mul_i32 s19, s12, s15
	s_mul_hi_u32 s14, s12, s14
	s_mul_hi_u32 s18, s12, s15
	s_add_u32 s14, s14, s19
	s_addc_u32 s18, 0, s18
	s_add_u32 s14, s14, s17
	s_mul_hi_u32 s19, s13, s15
	s_addc_u32 s14, s18, s16
	s_addc_u32 s16, s19, 0
	s_mul_i32 s15, s13, s15
	s_add_u32 s14, s14, s15
	v_mov_b32_e32 v1, s14
	s_addc_u32 s15, 0, s16
	v_add_co_u32_e32 v1, vcc, s12, v1
	s_cmp_lg_u64 vcc, 0
	s_addc_u32 s12, s13, s15
	v_readfirstlane_b32 s15, v1
	s_mul_i32 s14, s8, s12
	s_mul_hi_u32 s16, s8, s15
	s_mul_hi_u32 s13, s8, s12
	s_add_u32 s14, s16, s14
	s_addc_u32 s13, 0, s13
	s_mul_hi_u32 s17, s9, s15
	s_mul_i32 s15, s9, s15
	s_add_u32 s14, s14, s15
	s_mul_hi_u32 s16, s9, s12
	s_addc_u32 s13, s13, s17
	s_addc_u32 s14, s16, 0
	s_mul_i32 s12, s9, s12
	s_add_u32 s12, s13, s12
	s_addc_u32 s13, 0, s14
	s_add_u32 s14, s12, 1
	s_addc_u32 s15, s13, 0
	s_add_u32 s16, s12, 2
	s_mul_i32 s18, s13, 19
	s_mul_hi_u32 s19, s12, 19
	s_addc_u32 s17, s13, 0
	s_add_i32 s19, s19, s18
	s_mul_i32 s18, s12, 19
	v_mov_b32_e32 v1, s18
	v_sub_co_u32_e32 v1, vcc, s8, v1
	s_cmp_lg_u64 vcc, 0
	s_subb_u32 s8, s9, s19
	v_subrev_co_u32_e32 v2, vcc, 19, v1
	s_cmp_lg_u64 vcc, 0
	s_subb_u32 s9, s8, 0
	v_readfirstlane_b32 s18, v2
	s_cmp_gt_u32 s18, 18
	s_cselect_b32 s18, -1, 0
	s_cmp_eq_u32 s9, 0
	s_cselect_b32 s9, s18, -1
	s_cmp_lg_u32 s9, 0
	s_cselect_b32 s9, s16, s14
	s_cselect_b32 s14, s17, s15
	v_readfirstlane_b32 s15, v1
	s_cmp_gt_u32 s15, 18
	s_cselect_b32 s15, -1, 0
	s_cmp_eq_u32 s8, 0
	s_cselect_b32 s8, s15, -1
	s_cmp_lg_u32 s8, 0
	s_cselect_b32 s9, s9, s12
	s_cselect_b32 s8, s14, s13
	s_add_u32 s18, s9, 1
	s_addc_u32 s19, s8, 0
	v_pk_mov_b32 v[2:3], s[18:19], s[18:19] op_sel:[0,1]
	v_cmp_lt_u64_e32 vcc, s[6:7], v[2:3]
	s_cbranch_vccnz .LBB0_2
; %bb.1:
	v_cvt_f32_u32_e32 v1, s18
	s_sub_i32 s8, 0, s18
	s_mov_b32 s21, s7
	v_rcp_iflag_f32_e32 v1, v1
	v_mul_f32_e32 v1, 0x4f7ffffe, v1
	v_cvt_u32_f32_e32 v1, v1
	v_readfirstlane_b32 s9, v1
	s_mul_i32 s8, s8, s9
	s_mul_hi_u32 s8, s9, s8
	s_add_i32 s9, s9, s8
	s_mul_hi_u32 s8, s6, s9
	s_mul_i32 s12, s8, s18
	s_sub_i32 s12, s6, s12
	s_add_i32 s9, s8, 1
	s_sub_i32 s13, s12, s18
	s_cmp_ge_u32 s12, s18
	s_cselect_b32 s8, s9, s8
	s_cselect_b32 s12, s13, s12
	s_add_i32 s9, s8, 1
	s_cmp_ge_u32 s12, s18
	s_cselect_b32 s20, s9, s8
.LBB0_2:
	s_load_dwordx2 s[22:23], s[0:1], 0x10
	s_load_dwordx2 s[8:9], s[4:5], 0x50
	;; [unrolled: 1-line block ×3, first 2 shown]
	s_load_dwordx4 s[12:15], s[2:3], 0x0
	s_mov_b64 s[0:1], s[20:21]
	s_waitcnt lgkmcnt(0)
	v_pk_mov_b32 v[2:3], s[22:23], s[22:23] op_sel:[0,1]
	v_cmp_lt_u64_e32 vcc, s[20:21], v[2:3]
	s_cbranch_vccnz .LBB0_4
; %bb.3:
	v_cvt_f32_u32_e32 v1, s22
	s_sub_i32 s0, 0, s22
	v_rcp_iflag_f32_e32 v1, v1
	v_mul_f32_e32 v1, 0x4f7ffffe, v1
	v_cvt_u32_f32_e32 v1, v1
	v_readfirstlane_b32 s1, v1
	s_mul_i32 s0, s0, s1
	s_mul_hi_u32 s0, s1, s0
	s_add_i32 s1, s1, s0
	s_mul_hi_u32 s0, s20, s1
	s_mul_i32 s0, s0, s22
	s_sub_i32 s0, s20, s0
	s_sub_i32 s1, s0, s22
	s_cmp_ge_u32 s0, s22
	s_cselect_b32 s0, s1, s0
	s_sub_i32 s1, s0, s22
	s_cmp_ge_u32 s0, s22
	s_cselect_b32 s0, s1, s0
.LBB0_4:
	s_mul_i32 s1, s22, s19
	s_mul_hi_u32 s13, s22, s18
	s_add_i32 s1, s13, s1
	s_mul_i32 s13, s23, s18
	s_mul_i32 s24, s22, s18
	s_load_dwordx2 s[22:23], s[2:3], 0x10
	s_add_i32 s25, s1, s13
	v_pk_mov_b32 v[2:3], s[24:25], s[24:25] op_sel:[0,1]
	v_cmp_lt_u64_e32 vcc, s[6:7], v[2:3]
	s_mov_b64 s[26:27], 0
	s_cbranch_vccnz .LBB0_6
; %bb.5:
	v_cvt_f32_u32_e32 v1, s24
	s_sub_i32 s1, 0, s24
	v_rcp_iflag_f32_e32 v1, v1
	v_mul_f32_e32 v1, 0x4f7ffffe, v1
	v_cvt_u32_f32_e32 v1, v1
	v_readfirstlane_b32 s7, v1
	s_mul_i32 s1, s1, s7
	s_mul_hi_u32 s1, s7, s1
	s_add_i32 s7, s7, s1
	s_mul_hi_u32 s1, s6, s7
	s_mul_i32 s13, s1, s24
	s_sub_i32 s13, s6, s13
	s_add_i32 s7, s1, 1
	s_sub_i32 s15, s13, s24
	s_cmp_ge_u32 s13, s24
	s_cselect_b32 s1, s7, s1
	s_cselect_b32 s13, s15, s13
	s_add_i32 s7, s1, 1
	s_cmp_ge_u32 s13, s24
	s_cselect_b32 s26, s7, s1
.LBB0_6:
	s_mul_i32 s1, s20, s19
	s_mul_hi_u32 s7, s20, s18
	s_load_dword s2, s[2:3], 0x18
	s_add_i32 s7, s7, s1
	s_mul_i32 s1, s20, s18
	s_sub_u32 s1, s6, s1
	v_mul_u32_u24_e32 v36, 0xd7a, v0
	s_mul_i32 s3, s1, 19
	v_lshrrev_b32_e32 v176, 16, v36
	s_subb_u32 s6, 0, s7
	s_mul_i32 s13, s14, s3
	s_waitcnt lgkmcnt(0)
	s_mul_i32 s0, s22, s0
	v_mul_lo_u16_e32 v1, 19, v176
	s_mul_i32 s6, s6, 19
	s_mul_hi_u32 s7, s1, 19
	s_add_i32 s0, s0, s13
	s_mul_i32 s2, s2, s26
	v_sub_u16_e32 v2, v0, v1
	v_mov_b32_e32 v3, 0
	s_add_i32 s7, s7, s6
	s_add_i32 s2, s2, s0
	v_mad_u64_u32 v[44:45], s[0:1], s1, 19, v[2:3]
	s_add_u32 s0, s3, 19
	s_addc_u32 s1, s7, 0
	v_pk_mov_b32 v[4:5], s[10:11], s[10:11] op_sel:[0,1]
	v_add_u32_e32 v45, s6, v45
	v_cmp_le_u64_e32 vcc, s[0:1], v[4:5]
	v_mad_u64_u32 v[42:43], s[0:1], s14, v2, 0
	v_mul_lo_u32 v43, s12, v176
	v_cmp_gt_u64_e64 s[0:1], s[10:11], v[44:45]
	v_add_lshl_u32 v1, v42, v43, 3
	s_lshl_b32 s13, s2, 3
	s_or_b64 s[2:3], vcc, s[0:1]
	v_cndmask_b32_e64 v3, -1, v1, s[2:3]
	v_add_u32_e32 v1, 0x68, v176
	v_mul_lo_u32 v1, s12, v1
	v_add_lshl_u32 v1, v42, v1, 3
	v_cndmask_b32_e64 v12, -1, v1, s[2:3]
	v_add_u32_e32 v1, 13, v176
	v_mul_lo_u32 v4, s12, v1
	v_add_lshl_u32 v4, v42, v4, 3
	v_cndmask_b32_e64 v13, -1, v4, s[2:3]
	v_add_u32_e32 v4, 0x75, v176
	v_mul_lo_u32 v4, s12, v4
	s_mov_b32 s11, 0x20000
	s_mov_b32 s10, -2
	v_add_lshl_u32 v4, v42, v4, 3
	v_cndmask_b32_e64 v14, -1, v4, s[2:3]
	buffer_load_dwordx2 v[4:5], v3, s[8:11], s13 offen
	buffer_load_dwordx2 v[6:7], v12, s[8:11], s13 offen
	;; [unrolled: 1-line block ×4, first 2 shown]
	v_add_u32_e32 v12, 0x82, v176
	v_mul_lo_u32 v12, s12, v12
	v_add_lshl_u32 v12, v42, v12, 3
	v_cndmask_b32_e64 v20, -1, v12, s[2:3]
	v_add_u32_e32 v12, 39, v176
	v_mul_lo_u32 v12, s12, v12
	v_add_u32_e32 v37, 26, v176
	v_add_lshl_u32 v12, v42, v12, 3
	v_mul_lo_u32 v3, s12, v37
	v_cndmask_b32_e64 v21, -1, v12, s[2:3]
	v_add_u32_e32 v12, 0x8f, v176
	v_add_lshl_u32 v3, v42, v3, 3
	v_mul_lo_u32 v12, s12, v12
	v_cndmask_b32_e64 v3, -1, v3, s[2:3]
	v_add_lshl_u32 v12, v42, v12, 3
	v_cndmask_b32_e64 v22, -1, v12, s[2:3]
	buffer_load_dwordx2 v[12:13], v3, s[8:11], s13 offen
	buffer_load_dwordx2 v[14:15], v20, s[8:11], s13 offen
	buffer_load_dwordx2 v[16:17], v21, s[8:11], s13 offen
	buffer_load_dwordx2 v[18:19], v22, s[8:11], s13 offen
	v_add_u32_e32 v20, 0x9c, v176
	v_mul_lo_u32 v20, s12, v20
	v_add_lshl_u32 v20, v42, v20, 3
	v_cndmask_b32_e64 v28, -1, v20, s[2:3]
	v_add_u32_e32 v20, 0x41, v176
	v_mul_lo_u32 v20, s12, v20
	v_add_u32_e32 v38, 52, v176
	v_add_lshl_u32 v20, v42, v20, 3
	v_mul_lo_u32 v3, s12, v38
	v_cndmask_b32_e64 v29, -1, v20, s[2:3]
	v_add_u32_e32 v20, 0xa9, v176
	v_add_lshl_u32 v3, v42, v3, 3
	v_mul_lo_u32 v20, s12, v20
	v_cndmask_b32_e64 v3, -1, v3, s[2:3]
	v_add_lshl_u32 v20, v42, v20, 3
	v_cndmask_b32_e64 v30, -1, v20, s[2:3]
	buffer_load_dwordx2 v[20:21], v3, s[8:11], s13 offen
	buffer_load_dwordx2 v[22:23], v28, s[8:11], s13 offen
	;; [unrolled: 1-line block ×4, first 2 shown]
	v_add_u32_e32 v28, 0xb6, v176
	v_mul_lo_u32 v28, s12, v28
	v_add_lshl_u32 v28, v42, v28, 3
	v_add_u32_e32 v39, 0x4e, v176
	v_cndmask_b32_e64 v32, -1, v28, s[2:3]
	v_add_u32_e32 v28, 0x5b, v176
	v_mul_lo_u32 v3, s12, v39
	v_mul_lo_u32 v28, s12, v28
	v_add_lshl_u32 v3, v42, v3, 3
	v_add_lshl_u32 v28, v42, v28, 3
	v_cndmask_b32_e64 v3, -1, v3, s[2:3]
	v_cndmask_b32_e64 v40, -1, v28, s[2:3]
	v_add_u32_e32 v28, 0xc3, v176
	v_mul_lo_u32 v33, s12, v28
	buffer_load_dwordx2 v[28:29], v3, s[8:11], s13 offen
	buffer_load_dwordx2 v[30:31], v32, s[8:11], s13 offen
	v_add_lshl_u32 v3, v42, v33, 3
	v_cndmask_b32_e64 v3, -1, v3, s[2:3]
	buffer_load_dwordx2 v[32:33], v40, s[8:11], s13 offen
	buffer_load_dwordx2 v[34:35], v3, s[8:11], s13 offen
	v_mul_u32_u24_e32 v3, 0x130, v176
	v_lshlrev_b32_e32 v45, 3, v2
	v_add3_u32 v40, 0, v3, v45
	v_and_b32_e32 v72, 1, v1
	s_movk_i32 s6, 0xff68
                                        ; implicit-def: $vgpr76
                                        ; implicit-def: $vgpr80
                                        ; implicit-def: $vgpr92
                                        ; implicit-def: $vgpr94
                                        ; implicit-def: $vgpr96
                                        ; implicit-def: $vgpr100
                                        ; implicit-def: $vgpr102
	s_waitcnt vmcnt(14)
	v_pk_add_f32 v[2:3], v[4:5], v[6:7] neg_lo:[0,1] neg_hi:[0,1]
	v_pk_fma_f32 v[4:5], v[4:5], 2.0, v[2:3] op_sel_hi:[1,0,1] neg_lo:[0,0,1] neg_hi:[0,0,1]
	ds_write2_b64 v40, v[4:5], v[2:3] offset1:19
	s_waitcnt vmcnt(12)
	v_pk_add_f32 v[2:3], v[8:9], v[10:11] neg_lo:[0,1] neg_hi:[0,1]
	v_pk_fma_f32 v[4:5], v[8:9], 2.0, v[2:3] op_sel_hi:[1,0,1] neg_lo:[0,0,1] neg_hi:[0,0,1]
	v_add_u32_e32 v6, 0xc00, v40
	ds_write2_b64 v6, v[4:5], v[2:3] offset0:110 offset1:129
	v_add_u32_e32 v6, 0x1800, v40
	v_bfe_u32 v7, v36, 16, 1
	v_mul_u32_u24_e32 v7, 7, v7
	v_lshlrev_b32_e32 v64, 3, v7
	v_mul_i32_i24_e32 v7, 0xffffff68, v37
	s_waitcnt vmcnt(10)
	v_pk_add_f32 v[2:3], v[12:13], v[14:15] neg_lo:[0,1] neg_hi:[0,1]
	v_pk_fma_f32 v[4:5], v[12:13], 2.0, v[2:3] op_sel_hi:[1,0,1] neg_lo:[0,0,1] neg_hi:[0,0,1]
	ds_write2_b64 v6, v[4:5], v[2:3] offset0:220 offset1:239
	s_waitcnt vmcnt(8)
	v_pk_add_f32 v[2:3], v[16:17], v[18:19] neg_lo:[0,1] neg_hi:[0,1]
	v_pk_fma_f32 v[4:5], v[16:17], 2.0, v[2:3] op_sel_hi:[1,0,1] neg_lo:[0,0,1] neg_hi:[0,0,1]
	v_add_u32_e32 v6, 0x2800, v40
	ds_write2_b64 v6, v[4:5], v[2:3] offset0:202 offset1:221
	v_add_u32_e32 v6, 0x3800, v40
	s_waitcnt vmcnt(6)
	v_pk_add_f32 v[2:3], v[20:21], v[22:23] neg_lo:[0,1] neg_hi:[0,1]
	v_pk_fma_f32 v[4:5], v[20:21], 2.0, v[2:3] op_sel_hi:[1,0,1] neg_lo:[0,0,1] neg_hi:[0,0,1]
	ds_write2_b64 v6, v[4:5], v[2:3] offset0:184 offset1:203
	s_waitcnt vmcnt(4)
	v_pk_add_f32 v[2:3], v[24:25], v[26:27] neg_lo:[0,1] neg_hi:[0,1]
	v_pk_fma_f32 v[4:5], v[24:25], 2.0, v[2:3] op_sel_hi:[1,0,1] neg_lo:[0,0,1] neg_hi:[0,0,1]
	v_add_u32_e32 v6, 0x4800, v40
	ds_write2_b64 v6, v[4:5], v[2:3] offset0:166 offset1:185
	v_add_u32_e32 v6, 0x5800, v40
	s_waitcnt vmcnt(2)
	v_pk_add_f32 v[2:3], v[28:29], v[30:31] neg_lo:[0,1] neg_hi:[0,1]
	v_pk_fma_f32 v[4:5], v[28:29], 2.0, v[2:3] op_sel_hi:[1,0,1] neg_lo:[0,0,1] neg_hi:[0,0,1]
	ds_write2_b64 v6, v[4:5], v[2:3] offset0:148 offset1:167
	s_waitcnt vmcnt(0)
	v_pk_add_f32 v[2:3], v[32:33], v[34:35] neg_lo:[0,1] neg_hi:[0,1]
	v_pk_fma_f32 v[4:5], v[32:33], 2.0, v[2:3] op_sel_hi:[1,0,1] neg_lo:[0,0,1] neg_hi:[0,0,1]
	v_add_u32_e32 v6, 0x6800, v40
	ds_write2_b64 v6, v[4:5], v[2:3] offset0:130 offset1:149
	v_mul_u32_u24_e32 v2, 7, v72
	v_lshlrev_b32_e32 v6, 3, v2
	s_waitcnt lgkmcnt(0)
	s_barrier
	global_load_dwordx4 v[8:11], v6, s[16:17]
	global_load_dwordx4 v[2:5], v6, s[16:17] offset:16
	global_load_dwordx4 v[12:15], v64, s[16:17]
	global_load_dwordx4 v[16:19], v64, s[16:17] offset:16
	global_load_dwordx4 v[20:23], v64, s[16:17] offset:32
	;; [unrolled: 1-line block ×3, first 2 shown]
	global_load_dwordx2 v[32:33], v6, s[16:17] offset:48
	v_mad_i32_i24 v6, v176, s6, v40
	s_movk_i32 s6, 0x1ee0
	v_add3_u32 v7, v40, s6, v7
	v_mul_i32_i24_e32 v28, 0xffffff68, v38
	s_movk_i32 s6, 0x3dc0
	v_add3_u32 v28, v40, s6, v28
	ds_read_b64 v[34:35], v7
	ds_read_b64 v[36:37], v28
	v_mul_i32_i24_e32 v7, 0xffffff68, v39
	s_movk_i32 s6, 0x5ca0
	v_add3_u32 v73, v40, s6, v7
	ds_read_b64 v[38:39], v73
	ds_read_b64 v[28:29], v6 offset:5928
	ds_read_b64 v[40:41], v6 offset:9880
	;; [unrolled: 1-line block ×3, first 2 shown]
	ds_read_b64 v[48:49], v6
	global_load_dwordx2 v[64:65], v64, s[16:17] offset:48
	v_add_u32_e32 v7, 0x3600, v6
	s_movk_i32 s6, 0xf0
	s_waitcnt vmcnt(5) lgkmcnt(6)
	v_pk_mul_f32 v[58:59], v[12:13], v[34:35] op_sel:[0,1]
	v_pk_fma_f32 v[60:61], v[12:13], v[34:35], v[58:59] op_sel:[0,0,1] op_sel_hi:[1,1,0]
	v_mov_b32_e32 v30, v9
	s_waitcnt lgkmcnt(3)
	v_pk_mul_f32 v[30:31], v[28:29], v[30:31] op_sel:[1,0] op_sel_hi:[0,1]
	v_pk_fma_f32 v[50:51], v[28:29], v[8:9], v[30:31]
	v_pk_mul_f32 v[52:53], v[28:29], v[8:9] op_sel:[1,0] op_sel_hi:[0,1]
	ds_read2_b64 v[28:31], v7 offset0:1 offset1:248
	v_mov_b32_e32 v8, v11
	s_waitcnt lgkmcnt(3)
	v_pk_mul_f32 v[8:9], v[40:41], v[8:9] op_sel:[1,0] op_sel_hi:[0,1]
	v_add_u32_e32 v7, 0x4540, v6
	v_pk_fma_f32 v[54:55], v[40:41], v[10:11], v[8:9]
	v_pk_mul_f32 v[40:41], v[40:41], v[10:11] op_sel:[1,0] op_sel_hi:[0,1]
	ds_read2_b64 v[8:11], v7 offset0:7 offset1:254
	v_pk_fma_f32 v[12:13], v[12:13], v[34:35], v[58:59] op_sel:[0,0,1] op_sel_hi:[1,0,0] neg_lo:[1,0,0] neg_hi:[1,0,0]
	v_pk_mul_f32 v[34:35], v[14:15], v[36:37] op_sel:[0,1]
	v_pk_fma_f32 v[58:59], v[14:15], v[36:37], v[34:35] op_sel:[0,0,1] op_sel_hi:[1,1,0]
	v_pk_fma_f32 v[14:15], v[14:15], v[36:37], v[34:35] op_sel:[0,0,1] op_sel_hi:[1,0,0] neg_lo:[1,0,0] neg_hi:[1,0,0]
	s_waitcnt vmcnt(4)
	v_pk_mul_f32 v[34:35], v[16:17], v[38:39] op_sel:[0,1]
	v_mov_b32_e32 v12, v19
	v_pk_fma_f32 v[36:37], v[16:17], v[38:39], v[34:35] op_sel:[0,0,1] op_sel_hi:[1,1,0]
	v_pk_fma_f32 v[16:17], v[16:17], v[38:39], v[34:35] op_sel:[0,0,1] op_sel_hi:[1,0,0] neg_lo:[1,0,0] neg_hi:[1,0,0]
	s_waitcnt lgkmcnt(1)
	v_pk_mul_f32 v[34:35], v[30:31], v[12:13] op_sel_hi:[1,0]
	v_mov_b32_e32 v7, v2
	v_pk_fma_f32 v[38:39], v[30:31], v[18:19], v[34:35] op_sel:[0,0,1] op_sel_hi:[1,1,0]
	v_pk_fma_f32 v[18:19], v[30:31], v[18:19], v[34:35] op_sel:[0,0,1] op_sel_hi:[1,0,0] neg_lo:[0,0,1] neg_hi:[0,0,1]
	v_pk_mul_f32 v[30:31], v[28:29], v[6:7]
	v_mov_b32_e32 v7, v28
	v_mov_b32_e32 v12, v5
	v_pk_mul_f32 v[56:57], v[28:29], v[2:3]
	v_pk_mul_f32 v[28:29], v[6:7], v[2:3]
	s_waitcnt lgkmcnt(0)
	v_mov_b32_e32 v2, v9
	v_pk_mul_f32 v[34:35], v[8:9], v[12:13]
	v_pk_fma_f32 v[34:35], v[2:3], v[4:5], v[34:35] neg_lo:[0,0,1] neg_hi:[0,0,1]
	v_pk_mul_f32 v[2:3], v[8:9], v[4:5]
	v_mov_b32_e32 v2, v3
	v_pk_fma_f32 v[62:63], v[8:9], v[4:5], v[2:3]
	v_add_u32_e32 v2, 0x54c0, v6
	ds_read2_b64 v[2:5], v2 offset0:5 offset1:252
	s_waitcnt vmcnt(3)
	v_pk_mul_f32 v[8:9], v[10:11], v[20:21] op_sel:[0,1]
	v_pk_fma_f32 v[66:67], v[10:11], v[20:21], v[8:9] op_sel:[0,0,1] op_sel_hi:[1,1,0]
	v_pk_fma_f32 v[20:21], v[10:11], v[20:21], v[8:9] op_sel:[0,0,1] op_sel_hi:[1,0,0] neg_lo:[0,0,1] neg_hi:[0,0,1]
	s_waitcnt vmcnt(2)
	v_mov_b32_e32 v8, v25
	s_waitcnt lgkmcnt(0)
	v_pk_mul_f32 v[8:9], v[2:3], v[8:9] op_sel:[1,0] op_sel_hi:[0,1]
	v_add_u32_e32 v7, 0x6440, v6
	v_pk_fma_f32 v[68:69], v[2:3], v[24:25], v[8:9]
	ds_read2_b64 v[8:11], v7 offset0:3 offset1:250
	v_pk_mul_f32 v[70:71], v[2:3], v[24:25] op_sel:[1,0] op_sel_hi:[0,1]
	v_mov_b32_e32 v12, v71
	v_pk_fma_f32 v[2:3], v[2:3], v[24:25], v[12:13] op_sel:[1,0,0] op_sel_hi:[0,1,1] neg_lo:[0,0,1] neg_hi:[0,0,1]
	v_mov_b32_e32 v12, v27
	s_waitcnt lgkmcnt(0)
	v_pk_mul_f32 v[24:25], v[8:9], v[12:13] op_sel:[1,0] op_sel_hi:[0,1]
	v_mov_b32_e32 v18, v23
	v_pk_fma_f32 v[24:25], v[8:9], v[26:27], v[24:25]
	v_pk_mul_f32 v[8:9], v[8:9], v[26:27] op_sel:[1,0] op_sel_hi:[0,1]
	v_mov_b32_e32 v39, v19
	v_pk_mul_f32 v[18:19], v[4:5], v[18:19] op_sel_hi:[1,0]
	v_mov_b32_e32 v26, v40
	v_mov_b32_e32 v27, v8
	v_mov_b32_e32 v8, v41
	s_waitcnt vmcnt(1)
	v_mov_b32_e32 v12, v33
	v_mov_b32_e32 v30, v52
	;; [unrolled: 1-line block ×4, first 2 shown]
	v_pk_fma_f32 v[20:21], v[4:5], v[22:23], v[18:19] op_sel:[0,0,1] op_sel_hi:[1,1,0]
	v_pk_fma_f32 v[4:5], v[4:5], v[22:23], v[18:19] op_sel:[0,0,1] op_sel_hi:[1,0,0] neg_lo:[0,0,1] neg_hi:[0,0,1]
	v_pk_add_f32 v[8:9], v[26:27], v[8:9] neg_lo:[0,1] neg_hi:[0,1]
	v_pk_mul_f32 v[26:27], v[46:47], v[12:13]
	v_mov_b32_e32 v12, v47
	v_pk_add_f32 v[28:29], v[30:31], v[28:29] neg_lo:[0,1] neg_hi:[0,1]
	v_mov_b32_e32 v21, v5
	s_waitcnt vmcnt(0)
	v_pk_mul_f32 v[4:5], v[10:11], v[64:65] op_sel:[0,1]
	v_pk_fma_f32 v[26:27], v[12:13], v[32:33], v[26:27] neg_lo:[0,0,1] neg_hi:[0,0,1]
	v_pk_mul_f32 v[32:33], v[46:47], v[32:33]
	v_mov_b32_e32 v3, v68
	v_mov_b32_e32 v30, v28
	;; [unrolled: 1-line block ×4, first 2 shown]
	v_pk_fma_f32 v[18:19], v[10:11], v[64:65], v[4:5] op_sel:[0,0,1] op_sel_hi:[1,1,0]
	v_pk_fma_f32 v[4:5], v[10:11], v[64:65], v[4:5] op_sel:[0,0,1] op_sel_hi:[1,0,0] neg_lo:[0,0,1] neg_hi:[0,0,1]
	v_mov_b32_e32 v40, v56
	v_mov_b32_e32 v41, v32
	;; [unrolled: 1-line block ×3, first 2 shown]
	v_pk_add_f32 v[30:31], v[30:31], v[2:3] neg_lo:[0,1] neg_hi:[0,1]
	v_mov_b32_e32 v3, v26
	v_mov_b32_e32 v61, v13
	;; [unrolled: 1-line block ×4, first 2 shown]
	v_pk_add_f32 v[4:5], v[48:49], v[38:39] neg_lo:[0,1] neg_hi:[0,1]
	v_pk_add_f32 v[20:21], v[58:59], v[20:21] neg_lo:[0,1] neg_hi:[0,1]
	v_pk_add_f32 v[32:33], v[40:41], v[32:33]
	v_pk_add_f32 v[2:3], v[28:29], v[2:3] neg_lo:[0,1] neg_hi:[0,1]
	v_mov_b32_e32 v63, v34
	v_pk_fma_f32 v[22:23], v[58:59], 2.0, v[20:21] op_sel_hi:[1,0,1] neg_lo:[0,0,1] neg_hi:[0,0,1]
	v_pk_add_f32 v[34:35], v[60:61], v[66:67] neg_lo:[0,1] neg_hi:[0,1]
	v_pk_add_f32 v[18:19], v[36:37], v[18:19] neg_lo:[0,1] neg_hi:[0,1]
	v_pk_add_f32 v[40:41], v[4:5], v[20:21] op_sel:[0,1] op_sel_hi:[1,0]
	v_pk_add_f32 v[20:21], v[4:5], v[20:21] op_sel:[0,1] op_sel_hi:[1,0] neg_lo:[0,1] neg_hi:[0,1]
	v_mov_b32_e32 v26, v30
	v_mov_b32_e32 v27, v3
	;; [unrolled: 1-line block ×3, first 2 shown]
	v_pk_add_f32 v[2:3], v[2:3], v[30:31]
	v_pk_fma_f32 v[36:37], v[36:37], 2.0, v[18:19] op_sel_hi:[1,0,1] neg_lo:[0,0,1] neg_hi:[0,0,1]
	v_mov_b32_e32 v41, v21
	v_pk_add_f32 v[20:21], v[34:35], v[18:19] op_sel:[0,1] op_sel_hi:[1,0]
	v_pk_add_f32 v[18:19], v[34:35], v[18:19] op_sel:[0,1] op_sel_hi:[1,0] neg_lo:[0,1] neg_hi:[0,1]
	v_pk_fma_f32 v[26:27], v[28:29], 2.0, v[26:27] op_sel_hi:[1,0,1] neg_lo:[0,0,1] neg_hi:[0,0,1]
	v_pk_add_f32 v[28:29], v[32:33], v[12:13] neg_lo:[0,1] neg_hi:[0,1]
	v_lshlrev_b32_e32 v2, 3, v1
	v_mov_b32_e32 v21, v19
	v_fma_f32 v32, v32, 2.0, -v28
	v_pk_add_f32 v[28:29], v[30:31], v[28:29] neg_lo:[0,1] neg_hi:[0,1]
	v_and_or_b32 v2, v2, s6, v72
	s_mov_b32 s6, 0x3f3504f3
	v_pk_fma_f32 v[10:11], v[48:49], 2.0, v[4:5] op_sel_hi:[1,0,1] neg_lo:[0,0,1] neg_hi:[0,0,1]
	v_pk_fma_f32 v[38:39], v[60:61], 2.0, v[34:35] op_sel_hi:[1,0,1] neg_lo:[0,0,1] neg_hi:[0,0,1]
	;; [unrolled: 1-line block ×4, first 2 shown]
	v_mov_b32_e32 v29, v3
	v_lshl_or_b32 v3, v176, 3, v176
	v_pk_add_f32 v[22:23], v[10:11], v[22:23] neg_lo:[0,1] neg_hi:[0,1]
	v_pk_add_f32 v[36:37], v[38:39], v[36:37] neg_lo:[0,1] neg_hi:[0,1]
	v_pk_mul_f32 v[34:35], v[18:19], s[6:7] op_sel_hi:[1,0]
	v_pk_fma_f32 v[18:19], v[18:19], s[6:7], v[4:5] op_sel_hi:[1,0,1] neg_lo:[1,0,0] neg_hi:[1,0,0]
	v_and_b32_e32 v3, 0x71, v3
	v_pk_fma_f32 v[10:11], v[10:11], 2.0, v[22:23] op_sel_hi:[1,0,1] neg_lo:[0,0,1] neg_hi:[0,0,1]
	v_pk_fma_f32 v[38:39], v[38:39], 2.0, v[36:37] op_sel_hi:[1,0,1] neg_lo:[0,0,1] neg_hi:[0,0,1]
	v_pk_add_f32 v[46:47], v[18:19], v[34:35] op_sel:[0,1] op_sel_hi:[1,0]
	v_pk_add_f32 v[18:19], v[18:19], v[34:35] op_sel:[0,1] op_sel_hi:[1,0] neg_lo:[0,1] neg_hi:[0,1]
	v_mul_u32_u24_e32 v3, 0x98, v3
	v_mul_u32_u24_e32 v2, 0x98, v2
	v_pk_add_f32 v[38:39], v[10:11], v[38:39] neg_lo:[0,1] neg_hi:[0,1]
	v_mov_b32_e32 v47, v19
	v_add3_u32 v3, 0, v3, v45
	v_add3_u32 v7, 0, v2, v45
	v_add_u32_e32 v2, 0xffffd968, v73
	v_pk_fma_f32 v[10:11], v[10:11], 2.0, v[38:39] op_sel_hi:[1,0,1] neg_lo:[0,0,1] neg_hi:[0,0,1]
	v_pk_fma_f32 v[4:5], v[4:5], 2.0, v[46:47] op_sel_hi:[1,0,1] neg_lo:[0,0,1] neg_hi:[0,0,1]
	ds_read_b64 v[12:13], v2
	s_waitcnt lgkmcnt(0)
	s_barrier
	ds_write2_b64 v3, v[10:11], v[4:5] offset1:38
	v_pk_add_f32 v[4:5], v[22:23], v[36:37] op_sel:[0,1] op_sel_hi:[1,0]
	v_pk_add_f32 v[10:11], v[22:23], v[36:37] op_sel:[0,1] op_sel_hi:[1,0] neg_lo:[0,1] neg_hi:[0,1]
	v_mov_b32_e32 v5, v11
	v_pk_mul_f32 v[18:19], v[20:21], s[6:7] op_sel_hi:[1,0]
	v_pk_fma_f32 v[20:21], v[20:21], s[6:7], v[40:41] op_sel_hi:[1,0,1]
	v_pk_fma_f32 v[10:11], v[22:23], 2.0, v[4:5] op_sel_hi:[1,0,1] neg_lo:[0,0,1] neg_hi:[0,0,1]
	v_pk_add_f32 v[22:23], v[20:21], v[18:19] op_sel:[0,1] op_sel_hi:[1,0]
	v_pk_add_f32 v[18:19], v[20:21], v[18:19] op_sel:[0,1] op_sel_hi:[1,0] neg_lo:[0,1] neg_hi:[0,1]
	v_mov_b32_e32 v23, v19
	v_mov_b32_e32 v55, v8
	;; [unrolled: 1-line block ×3, first 2 shown]
	v_pk_fma_f32 v[18:19], v[40:41], 2.0, v[22:23] op_sel_hi:[1,0,1] neg_lo:[0,0,1] neg_hi:[0,0,1]
	v_mov_b32_e32 v9, v26
	v_mov_b32_e32 v33, v27
	v_pk_add_f32 v[26:27], v[12:13], v[62:63] neg_lo:[0,1] neg_hi:[0,1]
	v_pk_add_f32 v[24:25], v[54:55], v[24:25] neg_lo:[0,1] neg_hi:[0,1]
	ds_write2_b64 v3, v[10:11], v[18:19] offset0:76 offset1:114
	ds_write2_b64 v3, v[38:39], v[46:47] offset0:152 offset1:190
	v_add_u32_e32 v3, 0x400, v3
	ds_write2_b64 v3, v[4:5], v[22:23] offset0:100 offset1:138
	v_pk_add_f32 v[4:5], v[26:27], v[24:25] op_sel:[0,1] op_sel_hi:[1,0]
	v_pk_add_f32 v[10:11], v[26:27], v[24:25] op_sel:[0,1] op_sel_hi:[1,0] neg_lo:[0,1] neg_hi:[0,1]
	v_mov_b32_e32 v5, v11
	v_fma_f32 v8, v50, 2.0, -v31
	v_pk_fma_f32 v[14:15], v[30:31], 2.0, v[28:29] op_sel_hi:[1,0,1] neg_lo:[0,0,1] neg_hi:[0,0,1]
	v_pk_fma_f32 v[12:13], v[12:13], 2.0, v[26:27] op_sel_hi:[1,0,1] neg_lo:[0,0,1] neg_hi:[0,0,1]
	;; [unrolled: 1-line block ×4, first 2 shown]
	v_pk_add_f32 v[30:31], v[12:13], v[30:31] neg_lo:[0,1] neg_hi:[0,1]
	v_pk_add_f32 v[32:33], v[8:9], v[32:33] neg_lo:[0,1] neg_hi:[0,1]
	v_pk_fma_f32 v[18:19], v[14:15], s[6:7], v[10:11] op_sel:[0,0,1] op_sel_hi:[1,0,0] neg_lo:[1,0,0] neg_hi:[1,0,0]
	v_pk_fma_f32 v[12:13], v[12:13], 2.0, v[30:31] op_sel_hi:[1,0,1] neg_lo:[0,0,1] neg_hi:[0,0,1]
	v_pk_fma_f32 v[8:9], v[8:9], 2.0, v[32:33] op_sel_hi:[1,0,1] neg_lo:[0,0,1] neg_hi:[0,0,1]
	v_pk_fma_f32 v[46:47], v[14:15], s[6:7], v[18:19] op_sel:[0,0,1] op_sel_hi:[1,0,0]
	v_pk_fma_f32 v[48:49], v[14:15], s[6:7], v[18:19] op_sel:[0,0,1] op_sel_hi:[1,0,0] neg_lo:[1,0,0] neg_hi:[1,0,0]
	v_pk_add_f32 v[8:9], v[12:13], v[8:9] neg_lo:[0,1] neg_hi:[0,1]
	v_mov_b32_e32 v47, v49
	v_pk_mul_f32 v[16:17], v[28:29], s[6:7] op_sel_hi:[1,0]
	v_pk_fma_f32 v[12:13], v[12:13], 2.0, v[8:9] op_sel_hi:[1,0,1] neg_lo:[0,0,1] neg_hi:[0,0,1]
	v_pk_fma_f32 v[10:11], v[10:11], 2.0, v[46:47] op_sel_hi:[1,0,1] neg_lo:[0,0,1] neg_hi:[0,0,1]
	ds_write2_b64 v7, v[12:13], v[10:11] offset1:38
	v_pk_add_f32 v[12:13], v[4:5], v[16:17] op_sel:[0,1] op_sel_hi:[1,0]
	v_pk_add_f32 v[90:91], v[30:31], v[32:33] op_sel:[0,1] op_sel_hi:[1,0]
	v_pk_add_f32 v[74:75], v[30:31], v[32:33] op_sel:[0,1] op_sel_hi:[1,0] neg_lo:[0,1] neg_hi:[0,1]
	v_pk_fma_f32 v[98:99], v[28:29], s[6:7], v[12:13] op_sel_hi:[1,0,1]
	v_pk_fma_f32 v[78:79], v[28:29], s[6:7], v[12:13] op_sel_hi:[1,0,1] neg_lo:[1,0,0] neg_hi:[1,0,0]
	v_mov_b32_e32 v91, v75
	v_mov_b32_e32 v99, v79
	v_pk_fma_f32 v[10:11], v[30:31], 2.0, v[90:91] op_sel_hi:[1,0,1] neg_lo:[0,0,1] neg_hi:[0,0,1]
	v_pk_fma_f32 v[4:5], v[4:5], 2.0, v[98:99] op_sel_hi:[1,0,1] neg_lo:[0,0,1] neg_hi:[0,0,1]
	v_add_u32_e32 v3, 0x400, v7
	ds_write2_b64 v7, v[10:11], v[4:5] offset0:76 offset1:114
	ds_write2_b64 v7, v[8:9], v[46:47] offset0:152 offset1:190
	;; [unrolled: 1-line block ×3, first 2 shown]
	s_waitcnt lgkmcnt(0)
	s_barrier
	ds_read_b64 v[54:55], v6
	ds_read_b64 v[68:69], v6 offset:2432
	ds_read_b64 v[70:71], v6 offset:4864
	;; [unrolled: 1-line block ×12, first 2 shown]
	v_cmp_gt_u32_e64 s[6:7], 57, v0
                                        ; implicit-def: $vgpr51
                                        ; implicit-def: $vgpr72
                                        ; implicit-def: $vgpr52
	s_and_saveexec_b64 s[14:15], s[6:7]
	s_cbranch_execz .LBB0_8
; %bb.7:
	ds_read_b64 v[46:47], v2
	ds_read_b64 v[74:75], v6 offset:4408
	ds_read_b64 v[78:79], v6 offset:6840
	;; [unrolled: 1-line block ×12, first 2 shown]
	s_waitcnt lgkmcnt(11)
	v_mov_b32_e32 v90, v74
	s_waitcnt lgkmcnt(10)
	v_mov_b32_e32 v98, v78
	v_mov_b32_e32 v49, v47
.LBB0_8:
	s_or_b64 exec, exec, s[14:15]
	v_mul_u32_u24_e32 v2, 12, v176
	v_and_b32_e32 v45, 15, v1
	v_lshlrev_b32_e32 v47, 3, v2
	v_mul_u32_u24_e32 v10, 12, v45
	global_load_dwordx4 v[2:5], v47, s[16:17] offset:176
	global_load_dwordx4 v[6:9], v47, s[16:17] offset:192
	v_lshlrev_b32_e32 v48, 3, v10
	global_load_dwordx4 v[10:13], v48, s[16:17] offset:112
	global_load_dwordx4 v[14:17], v48, s[16:17] offset:144
	;; [unrolled: 1-line block ×8, first 2 shown]
	s_waitcnt lgkmcnt(3)
	v_mov_b32_e32 v112, v93
	v_mov_b32_e32 v113, v92
	;; [unrolled: 1-line block ×8, first 2 shown]
	s_load_dwordx2 s[4:5], s[4:5], 0x8
	v_mov_b32_e32 v105, v96
	v_mov_b32_e32 v111, v94
	;; [unrolled: 1-line block ×4, first 2 shown]
	v_or_b32_e32 v228, 16, v176
	s_mov_b32 s48, 0xbeedf032
	s_mov_b32 s14, 0x3f62ad3f
	;; [unrolled: 1-line block ×7, first 2 shown]
	v_or_b32_e32 v231, 48, v176
	s_mov_b32 s24, 0xbf29c268
	s_mov_b32 s22, 0xbf3f9e67
	;; [unrolled: 1-line block ×10, first 2 shown]
	s_waitcnt vmcnt(7)
	v_mul_f32_e32 v99, v90, v11
	v_mov_b32_e32 v48, v3
	v_pk_mul_f32 v[114:115], v[88:89], v[2:3] op_sel:[1,0] op_sel_hi:[0,1]
	v_mov_b32_e32 v74, v5
	s_waitcnt lgkmcnt(0)
	v_pk_mul_f32 v[116:117], v[86:87], v[4:5] op_sel:[1,0] op_sel_hi:[0,1]
	v_mov_b32_e32 v78, v7
	v_pk_mul_f32 v[118:119], v[84:85], v[6:7] op_sel:[1,0] op_sel_hi:[0,1]
	v_pk_mul_f32 v[122:123], v[82:83], v[8:9] op_sel:[1,0] op_sel_hi:[0,1]
	v_mov_b32_e32 v120, v9
	v_pk_mul_f32 v[124:125], v[88:89], v[48:49] op_sel:[1,0] op_sel_hi:[0,1]
	v_mov_b32_e32 v91, v114
	v_pk_mul_f32 v[114:115], v[86:87], v[74:75] op_sel:[1,0] op_sel_hi:[0,1]
	v_mov_b32_e32 v93, v116
	v_pk_mul_f32 v[116:117], v[84:85], v[78:79] op_sel:[1,0] op_sel_hi:[0,1]
	v_mov_b32_e32 v95, v118
	v_mov_b32_e32 v97, v122
	v_mul_f32_e32 v74, v75, v11
	v_mul_f32_e32 v11, v98, v13
	s_waitcnt vmcnt(6)
	v_mov_b32_e32 v48, v15
	v_mov_b32_e32 v122, v17
	s_waitcnt vmcnt(4)
	v_pk_mul_f32 v[138:139], v[112:113], v[22:23]
	v_pk_mul_f32 v[118:119], v[82:83], v[120:121] op_sel:[1,0] op_sel_hi:[0,1]
	v_mul_f32_e32 v78, v79, v13
	v_pk_mul_f32 v[120:121], v[108:109], v[14:15]
	v_pk_mul_f32 v[126:127], v[106:107], v[16:17]
	v_pk_fma_f32 v[140:141], v[88:89], v[2:3], v[124:125]
	v_pk_fma_f32 v[142:143], v[88:89], v[2:3], v[90:91] op_sel:[1,0,0] op_sel_hi:[0,1,1] neg_lo:[1,0,0] neg_hi:[1,0,0]
	v_pk_fma_f32 v[124:125], v[86:87], v[4:5], v[114:115]
	v_pk_fma_f32 v[144:145], v[86:87], v[4:5], v[92:93] op_sel:[1,0,0] op_sel_hi:[0,1,1] neg_lo:[1,0,0] neg_hi:[1,0,0]
	;; [unrolled: 2-line block ×3, first 2 shown]
	v_fma_f32 v75, v75, v10, -v99
	v_fma_f32 v79, v79, v12, -v11
	v_fmac_f32_e32 v74, v90, v10
	v_pk_mul_f32 v[6:7], v[108:109], v[48:49]
	v_pk_mul_f32 v[10:11], v[106:107], v[122:123]
	global_load_dwordx4 v[2:5], v47, s[16:17] offset:144
	v_mov_b32_e32 v103, v138
	v_pk_fma_f32 v[118:119], v[82:83], v[8:9], v[118:119]
	v_pk_fma_f32 v[146:147], v[82:83], v[8:9], v[96:97] op_sel:[1,0,0] op_sel_hi:[0,1,1] neg_lo:[1,0,0] neg_hi:[1,0,0]
	v_mov_b32_e32 v9, v120
	v_mov_b32_e32 v13, v126
	v_pk_fma_f32 v[84:85], v[102:103], v[14:15], v[6:7]
	v_pk_fma_f32 v[82:83], v[100:101], v[16:17], v[10:11]
	v_mov_b32_e32 v10, v81
	v_mov_b32_e32 v11, v80
	;; [unrolled: 1-line block ×3, first 2 shown]
	v_fmac_f32_e32 v78, v98, v12
	v_pk_fma_f32 v[98:99], v[108:109], v[14:15], v[8:9] neg_lo:[1,0,0] neg_hi:[1,0,0]
	v_pk_fma_f32 v[100:101], v[106:107], v[16:17], v[12:13] neg_lo:[1,0,0] neg_hi:[1,0,0]
	v_pk_mul_f32 v[12:13], v[10:11], v[6:7]
	global_load_dwordx4 v[6:9], v47, s[16:17] offset:160
	v_mov_b32_e32 v128, v19
	v_pk_mul_f32 v[130:131], v[104:105], v[18:19]
	v_mov_b32_e32 v132, v21
	v_pk_mul_f32 v[134:135], v[110:111], v[20:21]
	v_mov_b32_e32 v136, v23
	v_pk_fma_f32 v[80:81], v[80:81], v[24:25], v[12:13]
	v_pk_mul_f32 v[12:13], v[10:11], v[24:25]
	v_mul_lo_u32 v17, v44, v176
	v_pk_mul_f32 v[86:87], v[104:105], v[128:129]
	v_mov_b32_e32 v89, v130
	v_pk_mul_f32 v[90:91], v[110:111], v[132:133]
	v_mov_b32_e32 v93, v134
	;; [unrolled: 2-line block ×3, first 2 shown]
	v_lshlrev_b32_sdwa v14, v230, v17 dst_sel:DWORD dst_unused:UNUSED_PAD src0_sel:DWORD src1_sel:BYTE_0
	v_pk_fma_f32 v[86:87], v[96:97], v[18:19], v[86:87]
	v_pk_fma_f32 v[96:97], v[104:105], v[18:19], v[88:89] neg_lo:[1,0,0] neg_hi:[1,0,0]
	v_pk_fma_f32 v[90:91], v[94:95], v[20:21], v[90:91]
	v_pk_fma_f32 v[94:95], v[110:111], v[20:21], v[92:93] neg_lo:[1,0,0] neg_hi:[1,0,0]
	;; [unrolled: 2-line block ×3, first 2 shown]
	v_pk_fma_f32 v[102:103], v[10:11], v[24:25], v[12:13] neg_lo:[1,0,0] neg_hi:[1,0,0]
	v_lshlrev_b32_sdwa v15, v230, v17 dst_sel:DWORD dst_unused:UNUSED_PAD src0_sel:DWORD src1_sel:BYTE_1
	global_load_dwordx2 v[10:11], v14, s[4:5]
	global_load_dwordx2 v[12:13], v15, s[4:5] offset:2048
	v_bfe_u32 v17, v17, 16, 8
	v_lshl_or_b32 v17, v17, 3, v229
	global_load_dwordx2 v[18:19], v17, s[4:5]
	v_mov_b32_e32 v14, v77
	v_mov_b32_e32 v15, v76
	s_waitcnt vmcnt(6)
	v_mov_b32_e32 v16, v35
	v_pk_mul_f32 v[16:17], v[14:15], v[16:17]
	v_pk_fma_f32 v[76:77], v[76:77], v[34:35], v[16:17]
	v_pk_mul_f32 v[16:17], v[14:15], v[34:35]
	v_mov_b32_e32 v17, v16
	v_pk_fma_f32 v[104:105], v[14:15], v[34:35], v[16:17] neg_lo:[1,0,0] neg_hi:[1,0,0]
	v_mov_b32_e32 v14, v73
	v_mov_b32_e32 v15, v72
	;; [unrolled: 1-line block ×3, first 2 shown]
	v_pk_mul_f32 v[16:17], v[14:15], v[16:17]
	v_pk_fma_f32 v[72:73], v[72:73], v[36:37], v[16:17]
	v_pk_mul_f32 v[16:17], v[14:15], v[36:37]
	v_mov_b32_e32 v17, v16
	v_pk_fma_f32 v[106:107], v[14:15], v[36:37], v[16:17] neg_lo:[1,0,0] neg_hi:[1,0,0]
	v_mov_b32_e32 v14, v71
	v_mov_b32_e32 v15, v70
	;; [unrolled: 1-line block ×3, first 2 shown]
	v_pk_mul_f32 v[16:17], v[16:17], v[14:15]
	v_pk_fma_f32 v[16:17], v[32:33], v[70:71], v[16:17] op_sel_hi:[1,0,1]
	v_pk_mul_f32 v[20:21], v[32:33], v[14:15]
	v_mov_b32_e32 v17, v20
	v_pk_mul_f32 v[20:21], v[30:31], v[68:69] op_sel:[0,1]
	v_pk_fma_f32 v[22:23], v[30:31], v[68:69], v[20:21] op_sel:[0,0,1] op_sel_hi:[1,1,0]
	v_pk_fma_f32 v[20:21], v[30:31], v[68:69], v[20:21] op_sel:[0,0,1] op_sel_hi:[1,0,0] neg_lo:[1,0,0] neg_hi:[1,0,0]
	v_pk_fma_f32 v[14:15], v[32:33], v[14:15], v[16:17] neg_lo:[1,0,0] neg_hi:[1,0,0]
	v_mul_f32_e32 v20, v29, v67
	v_mul_lo_u32 v17, v44, v228
	v_mov_b32_e32 v24, v64
	v_mov_b32_e32 v25, v66
	v_fmac_f32_e32 v20, v28, v66
	v_mov_b32_e32 v31, v28
	v_mov_b32_e32 v28, v27
	v_lshlrev_b32_sdwa v23, v230, v17 dst_sel:DWORD dst_unused:UNUSED_PAD src0_sel:DWORD src1_sel:BYTE_0
	v_mov_b32_e32 v30, v26
	v_pk_mul_f32 v[24:25], v[28:29], v[24:25]
	v_mov_b32_e32 v66, v65
	global_load_dwordx2 v[28:29], v23, s[4:5]
	v_lshlrev_b32_sdwa v23, v230, v17 dst_sel:DWORD dst_unused:UNUSED_PAD src0_sel:DWORD src1_sel:BYTE_1
	v_pk_fma_f32 v[24:25], v[30:31], v[66:67], v[24:25] neg_lo:[0,0,1] neg_hi:[0,0,1]
	global_load_dwordx2 v[30:31], v23, s[4:5] offset:2048
	v_bfe_u32 v17, v17, 16, 8
	v_lshl_or_b32 v17, v17, 3, v229
	global_load_dwordx2 v[32:33], v17, s[4:5]
	v_mul_f32_e32 v14, v27, v65
	s_waitcnt vmcnt(7)
	v_mul_f32_e32 v66, v5, v63
	v_fmac_f32_e32 v14, v26, v64
	v_mov_b32_e32 v26, v60
	v_mov_b32_e32 v27, v62
	v_mul_f32_e32 v64, v3, v61
	v_fmac_f32_e32 v66, v4, v62
	v_mov_b32_e32 v35, v4
	v_mov_b32_e32 v4, v3
	v_fmac_f32_e32 v64, v2, v60
	v_mov_b32_e32 v34, v2
	v_pk_mul_f32 v[2:3], v[4:5], v[26:27]
	v_mov_b32_e32 v62, v61
	s_waitcnt vmcnt(6)
	v_mul_f32_e32 v70, v9, v59
	v_pk_fma_f32 v[62:63], v[34:35], v[62:63], v[2:3] neg_lo:[0,0,1] neg_hi:[0,0,1]
	v_mov_b32_e32 v2, v56
	v_mov_b32_e32 v3, v58
	v_fmac_f32_e32 v70, v8, v58
	v_mov_b32_e32 v5, v8
	v_mov_b32_e32 v8, v7
	v_mul_f32_e32 v110, v7, v57
	v_mov_b32_e32 v4, v6
	v_pk_mul_f32 v[2:3], v[8:9], v[2:3]
	v_mov_b32_e32 v58, v57
	v_fmac_f32_e32 v110, v6, v56
	v_pk_fma_f32 v[6:7], v[4:5], v[58:59], v[2:3] neg_lo:[0,0,1] neg_hi:[0,0,1]
	v_mov_b32_e32 v23, v21
	v_mov_b32_e32 v17, v15
	v_mov_b32_e32 v15, v24
	v_mov_b32_e32 v21, v25
	s_waitcnt vmcnt(5)
	v_mov_b32_e32 v8, v11
	s_waitcnt vmcnt(4)
	v_mov_b32_e32 v4, v13
	v_pk_mul_f32 v[2:3], v[10:11], v[12:13]
	v_pk_mul_f32 v[4:5], v[10:11], v[4:5]
	v_mov_b32_e32 v2, v3
	v_pk_fma_f32 v[4:5], v[8:9], v[12:13], v[4:5]
	v_pk_fma_f32 v[2:3], v[10:11], v[12:13], v[2:3] neg_lo:[0,0,1] neg_hi:[0,0,1]
	s_waitcnt vmcnt(3)
	v_pk_mul_f32 v[4:5], v[4:5], v[18:19] op_sel_hi:[0,1]
	v_pk_fma_f32 v[8:9], v[18:19], v[2:3], v[4:5] op_sel:[0,0,1] op_sel_hi:[1,0,0] neg_lo:[0,0,1] neg_hi:[0,0,1]
	v_pk_fma_f32 v[4:5], v[18:19], v[2:3], v[4:5] op_sel:[0,0,1] op_sel_hi:[1,0,0]
	v_pk_add_f32 v[2:3], v[22:23], v[54:55]
	v_pk_add_f32 v[2:3], v[2:3], v[16:17]
	;; [unrolled: 1-line block ×3, first 2 shown]
	v_mov_b32_e32 v65, v62
	v_pk_add_f32 v[2:3], v[2:3], v[20:21]
	v_pk_add_f32 v[2:3], v[2:3], v[64:65]
	v_mov_b32_e32 v67, v63
	v_mov_b32_e32 v111, v6
	v_pk_add_f32 v[2:3], v[2:3], v[66:67]
	v_pk_add_f32 v[2:3], v[2:3], v[110:111]
	v_mov_b32_e32 v71, v7
	v_pk_add_f32 v[2:3], v[2:3], v[70:71]
	v_mov_b32_e32 v141, v143
	;; [unrolled: 2-line block ×3, first 2 shown]
	v_mov_b32_e32 v115, v117
	v_pk_add_f32 v[2:3], v[2:3], v[124:125]
	v_mov_b32_e32 v119, v147
	v_pk_add_f32 v[2:3], v[2:3], v[114:115]
	v_pk_add_f32 v[10:11], v[2:3], v[118:119]
	v_pk_mul_f32 v[12:13], v[10:11], v[4:5]
	v_mov_b32_e32 v2, v8
	v_mov_b32_e32 v3, v5
	;; [unrolled: 1-line block ×3, first 2 shown]
	v_pk_fma_f32 v[2:3], v[10:11], v[2:3], v[4:5]
	v_mov_b32_e32 v4, v5
	v_pk_mul_f32 v[4:5], v[10:11], v[4:5]
	v_mov_b32_e32 v10, v11
	v_pk_fma_f32 v[4:5], v[10:11], v[8:9], v[4:5] neg_lo:[0,0,1] neg_hi:[0,0,1]
	v_or_b32_e32 v5, 32, v176
	v_mul_lo_u32 v3, v44, v5
	v_lshlrev_b32_sdwa v8, v230, v3 dst_sel:DWORD dst_unused:UNUSED_PAD src0_sel:DWORD src1_sel:BYTE_0
	v_lshlrev_b32_sdwa v9, v230, v3 dst_sel:DWORD dst_unused:UNUSED_PAD src0_sel:DWORD src1_sel:BYTE_1
	global_load_dwordx2 v[10:11], v8, s[4:5]
	global_load_dwordx2 v[12:13], v9, s[4:5] offset:2048
	v_pk_add_f32 v[26:27], v[16:17], v[114:115]
	v_mov_b32_e32 v58, v25
	s_waitcnt vmcnt(3)
	v_pk_mul_f32 v[8:9], v[28:29], v[30:31]
	v_mul_f32_e32 v18, v29, v30
	v_sub_f32_e32 v9, v8, v9
	v_fmac_f32_e32 v18, v28, v31
	s_waitcnt vmcnt(2)
	v_mul_f32_e32 v8, v9, v33
	v_fmac_f32_e32 v8, v32, v18
	v_mul_f32_e32 v18, v18, v33
	v_fma_f32 v18, v32, v9, -v18
	v_pk_add_f32 v[32:33], v[22:23], v[118:119] neg_lo:[0,1] neg_hi:[0,1]
	v_pk_add_f32 v[28:29], v[22:23], v[118:119]
	v_pk_add_f32 v[30:31], v[16:17], v[114:115] neg_lo:[0,1] neg_hi:[0,1]
	v_pk_mul_f32 v[16:17], v[32:33], s[48:49] op_sel_hi:[1,0]
	v_pk_fma_f32 v[114:115], v[28:29], s[14:15], v[16:17] op_sel:[0,0,1] op_sel_hi:[1,0,0]
	v_pk_fma_f32 v[116:117], v[28:29], s[14:15], v[16:17] op_sel:[0,0,1] op_sel_hi:[1,0,0] neg_lo:[0,0,1] neg_hi:[0,0,1]
	v_pk_mul_f32 v[34:35], v[30:31], s[26:27] op_sel:[1,0] op_sel_hi:[0,0]
	v_mov_b32_e32 v16, v114
	v_mov_b32_e32 v17, v117
	v_pk_fma_f32 v[118:119], v[26:27], s[6:7], v[34:35] op_sel_hi:[1,0,1]
	v_pk_fma_f32 v[120:121], v[26:27], s[6:7], v[34:35] op_sel_hi:[1,0,1] neg_lo:[0,0,1] neg_hi:[0,0,1]
	v_pk_add_f32 v[16:17], v[16:17], v[54:55]
	v_mov_b32_e32 v34, v118
	v_mov_b32_e32 v35, v121
	v_pk_add_f32 v[16:17], v[34:35], v[16:17]
	v_mov_b32_e32 v25, v14
	v_pk_add_f32 v[34:35], v[14:15], v[124:125]
	v_mov_b32_e32 v14, v145
	v_mov_b32_e32 v15, v124
	v_pk_add_f32 v[36:37], v[24:25], v[14:15] neg_lo:[0,1] neg_hi:[0,1]
	s_mov_b32 s16, 0x3df6dbef
	v_pk_mul_f32 v[14:15], v[36:37], s[40:41] op_sel_hi:[1,0]
	v_pk_fma_f32 v[124:125], v[34:35], s[16:17], v[14:15] op_sel_hi:[1,0,1]
	v_pk_fma_f32 v[126:127], v[34:35], s[16:17], v[14:15] op_sel_hi:[1,0,1] neg_lo:[0,0,1] neg_hi:[0,0,1]
	v_mov_b32_e32 v14, v124
	v_mov_b32_e32 v15, v127
	v_bfe_u32 v3, v3, 16, 8
	v_pk_add_f32 v[14:15], v[14:15], v[16:17]
	v_mov_b32_e32 v59, v20
	v_mov_b32_e32 v16, v143
	;; [unrolled: 1-line block ×3, first 2 shown]
	v_lshl_or_b32 v3, v3, 3, v229
	v_pk_add_f32 v[60:61], v[58:59], v[16:17] neg_lo:[0,1] neg_hi:[0,1]
	global_load_dwordx2 v[22:23], v3, s[4:5]
	v_pk_add_f32 v[56:57], v[20:21], v[140:141]
	v_pk_mul_f32 v[16:17], v[60:61], s[20:21] op_sel_hi:[1,0]
	v_pk_fma_f32 v[122:123], v[56:57], s[18:19], v[16:17] op_sel_hi:[1,0,1]
	v_pk_fma_f32 v[68:69], v[56:57], s[18:19], v[16:17] op_sel_hi:[1,0,1] neg_lo:[0,0,1] neg_hi:[0,0,1]
	v_mul_lo_u32 v3, v44, v231
	v_mov_b32_e32 v16, v122
	v_mov_b32_e32 v17, v69
	v_lshlrev_b32_sdwa v9, v230, v3 dst_sel:DWORD dst_unused:UNUSED_PAD src0_sel:DWORD src1_sel:BYTE_0
	v_pk_add_f32 v[14:15], v[16:17], v[14:15]
	v_lshlrev_b32_sdwa v17, v230, v3 dst_sel:DWORD dst_unused:UNUSED_PAD src0_sel:DWORD src1_sel:BYTE_1
	global_load_dwordx2 v[20:21], v9, s[4:5]
	global_load_dwordx2 v[24:25], v17, s[4:5] offset:2048
	v_bfe_u32 v3, v3, 16, 8
	v_lshl_or_b32 v3, v3, 3, v229
	global_load_dwordx2 v[148:149], v3, s[4:5]
	v_mov_b32_e32 v16, v63
	v_mov_b32_e32 v63, v64
	;; [unrolled: 1-line block ×4, first 2 shown]
	v_pk_add_f32 v[170:171], v[62:63], v[58:59] neg_lo:[0,1] neg_hi:[0,1]
	v_mov_b32_e32 v17, v66
	v_mov_b32_e32 v7, v110
	v_pk_add_f32 v[168:169], v[64:65], v[70:71]
	v_pk_mul_f32 v[58:59], v[170:171], s[24:25] op_sel_hi:[1,0]
	v_pk_add_f32 v[174:175], v[16:17], v[6:7] neg_lo:[0,1] neg_hi:[0,1]
	v_pk_fma_f32 v[70:71], v[168:169], s[22:23], v[58:59] op_sel_hi:[1,0,1]
	v_pk_fma_f32 v[108:109], v[168:169], s[22:23], v[58:59] op_sel_hi:[1,0,1] neg_lo:[0,0,1] neg_hi:[0,0,1]
	v_pk_add_f32 v[172:173], v[66:67], v[110:111]
	v_pk_mul_f32 v[6:7], v[174:175], s[30:31] op_sel_hi:[1,0]
	v_mov_b32_e32 v58, v70
	v_mov_b32_e32 v59, v109
	v_pk_fma_f32 v[110:111], v[172:173], s[28:29], v[6:7] op_sel_hi:[1,0,1]
	v_pk_fma_f32 v[112:113], v[172:173], s[28:29], v[6:7] op_sel_hi:[1,0,1] neg_lo:[0,0,1] neg_hi:[0,0,1]
	v_pk_add_f32 v[14:15], v[58:59], v[14:15]
	v_mov_b32_e32 v6, v110
	v_mov_b32_e32 v7, v113
	v_pk_add_f32 v[14:15], v[6:7], v[14:15]
	v_pk_mul_f32 v[8:9], v[14:15], v[8:9] op_sel_hi:[1,0]
	s_waitcnt vmcnt(4)
	v_mul_f32_e32 v3, v11, v12
	v_pk_fma_f32 v[6:7], v[14:15], v[18:19], v[8:9] op_sel:[0,0,1] op_sel_hi:[1,1,0]
	v_fmac_f32_e32 v3, v10, v13
	v_pk_mul_f32 v[10:11], v[10:11], v[12:13]
	v_sub_f32_e32 v7, v10, v11
	v_pk_mul_f32 v[10:11], v[32:33], s[26:27] op_sel_hi:[1,0]
	v_pk_fma_f32 v[8:9], v[14:15], v[18:19], v[8:9] op_sel:[0,0,1] op_sel_hi:[1,0,0] neg_lo:[0,0,1] neg_hi:[0,0,1]
	v_pk_fma_f32 v[132:133], v[28:29], s[6:7], v[10:11] op_sel:[0,0,1] op_sel_hi:[1,0,0]
	v_pk_fma_f32 v[130:131], v[28:29], s[6:7], v[10:11] op_sel:[0,0,1] op_sel_hi:[1,0,0] neg_lo:[0,0,1] neg_hi:[0,0,1]
	v_pk_mul_f32 v[14:15], v[30:31], s[20:21] op_sel:[1,0] op_sel_hi:[0,0]
	v_mov_b32_e32 v10, v132
	v_mov_b32_e32 v11, v131
	v_pk_fma_f32 v[140:141], v[26:27], s[18:19], v[14:15] op_sel_hi:[1,0,1]
	v_pk_fma_f32 v[138:139], v[26:27], s[18:19], v[14:15] op_sel_hi:[1,0,1] neg_lo:[0,0,1] neg_hi:[0,0,1]
	v_pk_add_f32 v[10:11], v[10:11], v[54:55]
	v_mov_b32_e32 v14, v140
	v_mov_b32_e32 v15, v139
	v_pk_add_f32 v[10:11], v[14:15], v[10:11]
	v_pk_mul_f32 v[14:15], v[36:37], s[30:31] op_sel_hi:[1,0]
	v_pk_fma_f32 v[144:145], v[34:35], s[28:29], v[14:15] op_sel_hi:[1,0,1]
	v_pk_fma_f32 v[146:147], v[34:35], s[28:29], v[14:15] op_sel_hi:[1,0,1] neg_lo:[0,0,1] neg_hi:[0,0,1]
	v_mov_b32_e32 v14, v144
	v_mov_b32_e32 v15, v147
	v_pk_add_f32 v[10:11], v[14:15], v[10:11]
	v_pk_mul_f32 v[14:15], v[60:61], s[44:45] op_sel_hi:[1,0]
	v_pk_fma_f32 v[134:135], v[56:57], s[22:23], v[14:15] op_sel_hi:[1,0,1]
	v_pk_fma_f32 v[136:137], v[56:57], s[22:23], v[14:15] op_sel_hi:[1,0,1] neg_lo:[0,0,1] neg_hi:[0,0,1]
	;; [unrolled: 6-line block ×4, first 2 shown]
	v_mov_b32_e32 v14, v66
	v_mov_b32_e32 v15, v129
	v_pk_add_f32 v[14:15], v[14:15], v[10:11]
	s_waitcnt vmcnt(3)
	v_mul_f32_e32 v8, v7, v23
	v_fmac_f32_e32 v8, v22, v3
	v_mul_f32_e32 v3, v3, v23
	v_fma_f32 v12, v22, v7, -v3
	v_pk_mul_f32 v[16:17], v[14:15], v[8:9] op_sel_hi:[1,0]
	v_pk_fma_f32 v[10:11], v[14:15], v[12:13], v[16:17] op_sel:[0,0,1] op_sel_hi:[1,1,0]
	v_pk_fma_f32 v[12:13], v[14:15], v[12:13], v[16:17] op_sel:[0,0,1] op_sel_hi:[1,0,0] neg_lo:[0,0,1] neg_hi:[0,0,1]
	v_pk_mul_f32 v[16:17], v[30:31], s[30:31] op_sel:[1,0] op_sel_hi:[0,0]
	v_pk_fma_f32 v[150:151], v[26:27], s[28:29], v[16:17] op_sel_hi:[1,0,1]
	v_pk_mul_f32 v[210:211], v[30:31], s[34:35] op_sel:[1,0] op_sel_hi:[0,0]
	v_pk_fma_f32 v[212:213], v[26:27], s[16:17], v[210:211] op_sel_hi:[1,0,1]
	s_waitcnt vmcnt(1)
	v_pk_mul_f32 v[14:15], v[20:21], v[24:25]
	v_mul_f32_e32 v3, v21, v24
	v_sub_f32_e32 v7, v14, v15
	v_fmac_f32_e32 v3, v20, v25
	s_waitcnt vmcnt(0)
	v_mul_f32_e32 v8, v7, v149
	v_pk_mul_f32 v[14:15], v[32:33], s[40:41] op_sel_hi:[1,0]
	v_fmac_f32_e32 v8, v148, v3
	v_mul_f32_e32 v3, v3, v149
	v_pk_fma_f32 v[62:63], v[28:29], s[16:17], v[14:15] op_sel:[0,0,1] op_sel_hi:[1,0,0]
	v_pk_fma_f32 v[58:59], v[28:29], s[16:17], v[14:15] op_sel:[0,0,1] op_sel_hi:[1,0,0] neg_lo:[0,0,1] neg_hi:[0,0,1]
	v_fma_f32 v12, v148, v7, -v3
	v_mov_b32_e32 v14, v62
	v_mov_b32_e32 v15, v59
	v_pk_fma_f32 v[148:149], v[26:27], s[28:29], v[16:17] op_sel_hi:[1,0,1] neg_lo:[0,0,1] neg_hi:[0,0,1]
	v_pk_add_f32 v[14:15], v[14:15], v[54:55]
	v_mov_b32_e32 v16, v150
	v_mov_b32_e32 v17, v149
	v_pk_add_f32 v[14:15], v[16:17], v[14:15]
	v_pk_mul_f32 v[16:17], v[36:37], s[46:47] op_sel_hi:[1,0]
	v_pk_fma_f32 v[152:153], v[34:35], s[18:19], v[16:17] op_sel_hi:[1,0,1]
	v_pk_fma_f32 v[154:155], v[34:35], s[18:19], v[16:17] op_sel_hi:[1,0,1] neg_lo:[0,0,1] neg_hi:[0,0,1]
	v_mov_b32_e32 v16, v152
	v_mov_b32_e32 v17, v155
	v_pk_add_f32 v[14:15], v[16:17], v[14:15]
	v_pk_mul_f32 v[16:17], v[60:61], s[36:37] op_sel_hi:[1,0]
	v_pk_fma_f32 v[156:157], v[56:57], s[14:15], v[16:17] op_sel_hi:[1,0,1]
	v_pk_fma_f32 v[158:159], v[56:57], s[14:15], v[16:17] op_sel_hi:[1,0,1] neg_lo:[0,0,1] neg_hi:[0,0,1]
	;; [unrolled: 6-line block ×4, first 2 shown]
	v_mov_b32_e32 v16, v164
	v_mov_b32_e32 v17, v167
	v_pk_add_f32 v[16:17], v[16:17], v[14:15]
	v_pk_mul_f32 v[18:19], v[16:17], v[8:9] op_sel_hi:[1,0]
	v_or_b32_e32 v8, 64, v176
	v_mul_lo_u32 v3, v44, v8
	v_lshlrev_b32_sdwa v7, v230, v3 dst_sel:DWORD dst_unused:UNUSED_PAD src0_sel:DWORD src1_sel:BYTE_0
	v_lshlrev_b32_sdwa v11, v230, v3 dst_sel:DWORD dst_unused:UNUSED_PAD src0_sel:DWORD src1_sel:BYTE_1
	v_bfe_u32 v3, v3, 16, 8
	v_pk_fma_f32 v[14:15], v[16:17], v[12:13], v[18:19] op_sel:[0,0,1] op_sel_hi:[1,1,0]
	v_pk_fma_f32 v[16:17], v[16:17], v[12:13], v[18:19] op_sel:[0,0,1] op_sel_hi:[1,0,0] neg_lo:[0,0,1] neg_hi:[0,0,1]
	v_lshl_or_b32 v3, v3, 3, v229
	global_load_dwordx2 v[18:19], v7, s[4:5]
	global_load_dwordx2 v[20:21], v11, s[4:5] offset:2048
	global_load_dwordx2 v[22:23], v3, s[4:5]
	v_or_b32_e32 v12, 0x50, v176
	v_mul_lo_u32 v3, v44, v12
	v_lshlrev_b32_sdwa v7, v230, v3 dst_sel:DWORD dst_unused:UNUSED_PAD src0_sel:DWORD src1_sel:BYTE_0
	global_load_dwordx2 v[24:25], v7, s[4:5]
	v_pk_fma_f32 v[210:211], v[26:27], s[16:17], v[210:211] op_sel_hi:[1,0,1] neg_lo:[0,0,1] neg_hi:[0,0,1]
	v_mov_b32_e32 v214, v212
	v_mov_b32_e32 v215, v211
	;; [unrolled: 1-line block ×5, first 2 shown]
	v_pk_add_f32 v[58:59], v[58:59], v[54:55]
	v_pk_add_f32 v[58:59], v[148:149], v[58:59]
	v_mov_b32_e32 v155, v153
	v_pk_add_f32 v[58:59], v[154:155], v[58:59]
	v_mov_b32_e32 v159, v157
	;; [unrolled: 2-line block ×5, first 2 shown]
	v_mov_b32_e32 v139, v141
	v_pk_add_f32 v[130:131], v[130:131], v[54:55]
	v_pk_add_f32 v[130:131], v[138:139], v[130:131]
	v_mov_b32_e32 v147, v145
	v_pk_add_f32 v[130:131], v[146:147], v[130:131]
	v_mov_b32_e32 v137, v135
	;; [unrolled: 2-line block ×4, first 2 shown]
	v_mov_b32_e32 v117, v115
	v_pk_add_f32 v[66:67], v[128:129], v[64:65]
	v_mov_b32_e32 v121, v119
	v_mov_b32_e32 v127, v125
	;; [unrolled: 1-line block ×15, first 2 shown]
	v_pk_add_f32 v[160:161], v[74:75], v[72:73]
	v_pk_add_f32 v[158:159], v[78:79], v[76:77] neg_lo:[0,1] neg_hi:[0,1]
	v_mov_b32_e32 v47, v49
	v_pk_add_f32 v[154:155], v[78:79], v[76:77]
	v_pk_add_f32 v[162:163], v[82:83], v[86:87]
	v_pk_mul_f32 v[100:101], v[158:159], s[20:21] op_sel:[1,0] op_sel_hi:[0,0]
	v_pk_fma_f32 v[106:107], v[154:155], s[18:19], v[100:101] op_sel_hi:[1,0,1]
	v_pk_fma_f32 v[104:105], v[154:155], s[18:19], v[100:101] op_sel_hi:[1,0,1] neg_lo:[0,0,1] neg_hi:[0,0,1]
	v_mov_b32_e32 v100, v106
	v_mov_b32_e32 v101, v105
	;; [unrolled: 1-line block ×3, first 2 shown]
	s_waitcnt vmcnt(2)
	v_mul_f32_e32 v7, v19, v20
	v_fmac_f32_e32 v7, v18, v21
	v_pk_mul_f32 v[18:19], v[18:19], v[20:21]
	v_sub_f32_e32 v11, v18, v19
	s_waitcnt vmcnt(1)
	v_mul_f32_e32 v16, v11, v23
	v_fmac_f32_e32 v16, v22, v7
	v_mul_f32_e32 v7, v7, v23
	v_pk_mul_f32 v[18:19], v[32:33], s[20:21] op_sel_hi:[1,0]
	v_fma_f32 v20, v22, v11, -v7
	v_pk_fma_f32 v[178:179], v[28:29], s[18:19], v[18:19] op_sel:[0,0,1] op_sel_hi:[1,0,0]
	v_pk_fma_f32 v[180:181], v[28:29], s[18:19], v[18:19] op_sel:[0,0,1] op_sel_hi:[1,0,0] neg_lo:[0,0,1] neg_hi:[0,0,1]
	v_pk_mul_f32 v[22:23], v[30:31], s[44:45] op_sel:[1,0] op_sel_hi:[0,0]
	v_mov_b32_e32 v18, v178
	v_mov_b32_e32 v19, v181
	v_pk_fma_f32 v[182:183], v[26:27], s[22:23], v[22:23] op_sel_hi:[1,0,1]
	v_pk_fma_f32 v[184:185], v[26:27], s[22:23], v[22:23] op_sel_hi:[1,0,1] neg_lo:[0,0,1] neg_hi:[0,0,1]
	v_pk_add_f32 v[18:19], v[18:19], v[54:55]
	v_mov_b32_e32 v22, v182
	v_mov_b32_e32 v23, v185
	v_pk_add_f32 v[18:19], v[22:23], v[18:19]
	v_pk_mul_f32 v[22:23], v[36:37], s[36:37] op_sel_hi:[1,0]
	v_pk_fma_f32 v[186:187], v[34:35], s[14:15], v[22:23] op_sel_hi:[1,0,1]
	v_pk_fma_f32 v[188:189], v[34:35], s[14:15], v[22:23] op_sel_hi:[1,0,1] neg_lo:[0,0,1] neg_hi:[0,0,1]
	v_mov_b32_e32 v22, v186
	v_mov_b32_e32 v23, v189
	v_pk_add_f32 v[18:19], v[22:23], v[18:19]
	v_pk_mul_f32 v[22:23], v[60:61], s[40:41] op_sel_hi:[1,0]
	v_pk_fma_f32 v[190:191], v[56:57], s[16:17], v[22:23] op_sel_hi:[1,0,1]
	v_pk_fma_f32 v[192:193], v[56:57], s[16:17], v[22:23] op_sel_hi:[1,0,1] neg_lo:[0,0,1] neg_hi:[0,0,1]
	;; [unrolled: 6-line block ×4, first 2 shown]
	v_mov_b32_e32 v22, v198
	v_mov_b32_e32 v23, v201
	v_pk_add_f32 v[22:23], v[22:23], v[18:19]
	v_pk_mul_f32 v[202:203], v[22:23], v[16:17] op_sel_hi:[1,0]
	v_lshlrev_b32_sdwa v7, v230, v3 dst_sel:DWORD dst_unused:UNUSED_PAD src0_sel:DWORD src1_sel:BYTE_1
	v_bfe_u32 v3, v3, 16, 8
	v_pk_fma_f32 v[18:19], v[22:23], v[20:21], v[202:203] op_sel:[0,0,1] op_sel_hi:[1,1,0]
	v_pk_fma_f32 v[20:21], v[22:23], v[20:21], v[202:203] op_sel:[0,0,1] op_sel_hi:[1,0,0] neg_lo:[0,0,1] neg_hi:[0,0,1]
	v_lshl_or_b32 v3, v3, 3, v229
	global_load_dwordx2 v[22:23], v7, s[4:5] offset:2048
	global_load_dwordx2 v[202:203], v3, s[4:5]
	v_or_b32_e32 v16, 0x60, v176
	v_mul_lo_u32 v3, v44, v16
	v_lshlrev_b32_sdwa v7, v230, v3 dst_sel:DWORD dst_unused:UNUSED_PAD src0_sel:DWORD src1_sel:BYTE_0
	v_lshlrev_b32_sdwa v11, v230, v3 dst_sel:DWORD dst_unused:UNUSED_PAD src0_sel:DWORD src1_sel:BYTE_1
	global_load_dwordx2 v[204:205], v7, s[4:5]
	global_load_dwordx2 v[206:207], v11, s[4:5] offset:2048
	v_bfe_u32 v3, v3, 16, 8
	v_lshl_or_b32 v3, v3, 3, v229
	v_pk_mul_f32 v[30:31], v[30:31], s[36:37] op_sel:[1,0] op_sel_hi:[0,0]
	v_pk_fma_f32 v[238:239], v[26:27], s[14:15], v[30:31] op_sel_hi:[1,0,1] neg_lo:[0,0,1] neg_hi:[0,0,1]
	v_mov_b32_e32 v181, v179
	v_mov_b32_e32 v185, v183
	;; [unrolled: 1-line block ×6, first 2 shown]
	s_waitcnt vmcnt(3)
	v_mul_f32_e32 v7, v25, v22
	v_fmac_f32_e32 v7, v24, v23
	v_pk_mul_f32 v[22:23], v[24:25], v[22:23]
	v_sub_f32_e32 v11, v22, v23
	s_waitcnt vmcnt(2)
	v_mul_f32_e32 v20, v11, v203
	v_fmac_f32_e32 v20, v202, v7
	v_mul_f32_e32 v7, v7, v203
	v_pk_mul_f32 v[22:23], v[32:33], s[24:25] op_sel_hi:[1,0]
	v_fma_f32 v24, v202, v11, -v7
	v_pk_fma_f32 v[202:203], v[28:29], s[22:23], v[22:23] op_sel:[0,0,1] op_sel_hi:[1,0,0]
	v_pk_fma_f32 v[208:209], v[28:29], s[22:23], v[22:23] op_sel:[0,0,1] op_sel_hi:[1,0,0] neg_lo:[0,0,1] neg_hi:[0,0,1]
	v_mov_b32_e32 v22, v202
	v_mov_b32_e32 v23, v209
	v_pk_add_f32 v[22:23], v[22:23], v[54:55]
	v_pk_add_f32 v[22:23], v[214:215], v[22:23]
	v_pk_mul_f32 v[214:215], v[36:37], s[26:27] op_sel_hi:[1,0]
	v_pk_fma_f32 v[216:217], v[34:35], s[6:7], v[214:215] op_sel_hi:[1,0,1]
	v_pk_fma_f32 v[214:215], v[34:35], s[6:7], v[214:215] op_sel_hi:[1,0,1] neg_lo:[0,0,1] neg_hi:[0,0,1]
	v_mov_b32_e32 v218, v216
	v_mov_b32_e32 v219, v215
	v_pk_add_f32 v[22:23], v[218:219], v[22:23]
	v_pk_mul_f32 v[218:219], v[60:61], s[42:43] op_sel_hi:[1,0]
	v_pk_fma_f32 v[220:221], v[56:57], s[28:29], v[218:219] op_sel_hi:[1,0,1]
	v_pk_fma_f32 v[218:219], v[56:57], s[28:29], v[218:219] op_sel_hi:[1,0,1] neg_lo:[0,0,1] neg_hi:[0,0,1]
	v_mov_b32_e32 v222, v220
	v_mov_b32_e32 v223, v219
	;; [unrolled: 6-line block ×4, first 2 shown]
	v_pk_add_f32 v[234:235], v[234:235], v[22:23]
	v_pk_mul_f32 v[236:237], v[234:235], v[20:21] op_sel_hi:[1,0]
	v_or_b32_e32 v20, 0x70, v176
	v_pk_fma_f32 v[22:23], v[234:235], v[24:25], v[236:237] op_sel:[0,0,1] op_sel_hi:[1,1,0]
	s_waitcnt vmcnt(0)
	v_mul_f32_e32 v7, v205, v206
	v_mul_lo_u32 v15, v44, v20
	v_fmac_f32_e32 v7, v204, v207
	v_pk_mul_f32 v[204:205], v[204:205], v[206:207]
	v_lshlrev_b32_sdwa v19, v230, v15 dst_sel:DWORD dst_unused:UNUSED_PAD src0_sel:DWORD src1_sel:BYTE_0
	v_lshlrev_b32_sdwa v23, v230, v15 dst_sel:DWORD dst_unused:UNUSED_PAD src0_sel:DWORD src1_sel:BYTE_1
	v_bfe_u32 v15, v15, 16, 8
	v_pk_fma_f32 v[24:25], v[234:235], v[24:25], v[236:237] op_sel:[0,0,1] op_sel_hi:[1,0,0] neg_lo:[0,0,1] neg_hi:[0,0,1]
	v_sub_f32_e32 v11, v204, v205
	v_lshl_or_b32 v15, v15, 3, v229
	global_load_dwordx2 v[204:205], v3, s[4:5]
	global_load_dwordx2 v[206:207], v19, s[4:5]
	global_load_dwordx2 v[234:235], v23, s[4:5] offset:2048
	global_load_dwordx2 v[236:237], v15, s[4:5]
	v_pk_mul_f32 v[32:33], v[32:33], s[30:31] op_sel_hi:[1,0]
	v_mov_b32_e32 v209, v203
	v_mov_b32_e32 v215, v217
	;; [unrolled: 1-line block ×5, first 2 shown]
	s_waitcnt vmcnt(3)
	v_mul_f32_e32 v24, v11, v205
	v_mul_f32_e32 v3, v7, v205
	v_fmac_f32_e32 v24, v204, v7
	v_fma_f32 v48, v204, v11, -v3
	v_pk_fma_f32 v[204:205], v[28:29], s[28:29], v[32:33] op_sel:[0,0,1] op_sel_hi:[1,0,0]
	v_pk_fma_f32 v[28:29], v[28:29], s[28:29], v[32:33] op_sel:[0,0,1] op_sel_hi:[1,0,0] neg_lo:[0,0,1] neg_hi:[0,0,1]
	v_pk_fma_f32 v[32:33], v[26:27], s[14:15], v[30:31] op_sel_hi:[1,0,1]
	v_mov_b32_e32 v26, v204
	v_mov_b32_e32 v27, v29
	v_pk_add_f32 v[26:27], v[26:27], v[54:55]
	v_mov_b32_e32 v30, v32
	v_mov_b32_e32 v31, v239
	v_pk_add_f32 v[26:27], v[30:31], v[26:27]
	v_pk_mul_f32 v[30:31], v[36:37], s[24:25] op_sel_hi:[1,0]
	v_pk_fma_f32 v[36:37], v[34:35], s[22:23], v[30:31] op_sel_hi:[1,0,1]
	v_pk_fma_f32 v[34:35], v[34:35], s[22:23], v[30:31] op_sel_hi:[1,0,1] neg_lo:[0,0,1] neg_hi:[0,0,1]
	v_mov_b32_e32 v30, v36
	v_mov_b32_e32 v31, v35
	v_pk_add_f32 v[26:27], v[30:31], v[26:27]
	v_pk_mul_f32 v[30:31], v[60:61], s[38:39] op_sel_hi:[1,0]
	v_pk_fma_f32 v[60:61], v[56:57], s[6:7], v[30:31] op_sel_hi:[1,0,1]
	v_pk_fma_f32 v[56:57], v[56:57], s[6:7], v[30:31] op_sel_hi:[1,0,1] neg_lo:[0,0,1] neg_hi:[0,0,1]
	;; [unrolled: 6-line block ×3, first 2 shown]
	v_mov_b32_e32 v30, v170
	v_mov_b32_e32 v31, v169
	;; [unrolled: 1-line block ×3, first 2 shown]
	v_pk_add_f32 v[26:27], v[30:31], v[26:27]
	v_pk_mul_f32 v[30:31], v[174:175], s[34:35] op_sel_hi:[1,0]
	v_mov_b32_e32 v239, v33
	v_pk_add_f32 v[28:29], v[28:29], v[54:55]
	v_pk_fma_f32 v[174:175], v[172:173], s[16:17], v[30:31] op_sel_hi:[1,0,1]
	v_pk_fma_f32 v[172:173], v[172:173], s[16:17], v[30:31] op_sel_hi:[1,0,1] neg_lo:[0,0,1] neg_hi:[0,0,1]
	s_waitcnt vmcnt(1)
	v_mul_f32_e32 v3, v207, v234
	v_pk_add_f32 v[28:29], v[238:239], v[28:29]
	v_mov_b32_e32 v35, v37
	v_mov_b32_e32 v30, v174
	v_mov_b32_e32 v31, v173
	v_fmac_f32_e32 v3, v206, v235
	v_pk_mul_f32 v[206:207], v[206:207], v[234:235]
	v_pk_add_f32 v[28:29], v[34:35], v[28:29]
	v_mov_b32_e32 v57, v61
	v_pk_add_f32 v[30:31], v[30:31], v[26:27]
	v_sub_f32_e32 v7, v206, v207
	v_pk_add_f32 v[28:29], v[56:57], v[28:29]
	v_mov_b32_e32 v169, v171
	v_pk_mul_f32 v[240:241], v[30:31], v[24:25] op_sel_hi:[1,0]
	s_waitcnt vmcnt(0)
	v_mul_f32_e32 v24, v7, v237
	v_pk_add_f32 v[28:29], v[168:169], v[28:29]
	v_mov_b32_e32 v173, v175
	v_fmac_f32_e32 v24, v236, v3
	v_pk_add_f32 v[32:33], v[172:173], v[28:29]
	v_pk_fma_f32 v[26:27], v[30:31], v[48:49], v[240:241] op_sel:[0,0,1] op_sel_hi:[1,1,0]
	v_pk_fma_f32 v[30:31], v[30:31], v[48:49], v[240:241] op_sel:[0,0,1] op_sel_hi:[1,0,0] neg_lo:[0,0,1] neg_hi:[0,0,1]
	v_mul_f32_e32 v3, v3, v237
	v_pk_mul_f32 v[34:35], v[32:33], v[24:25] op_sel_hi:[1,0]
	v_or_b32_e32 v24, 0x80, v176
	v_fma_f32 v30, v236, v7, -v3
	v_mul_lo_u32 v3, v44, v24
	v_lshlrev_b32_sdwa v7, v230, v3 dst_sel:DWORD dst_unused:UNUSED_PAD src0_sel:DWORD src1_sel:BYTE_0
	v_lshlrev_b32_sdwa v11, v230, v3 dst_sel:DWORD dst_unused:UNUSED_PAD src0_sel:DWORD src1_sel:BYTE_1
	v_bfe_u32 v3, v3, 16, 8
	v_pk_fma_f32 v[28:29], v[32:33], v[30:31], v[34:35] op_sel:[0,0,1] op_sel_hi:[1,1,0]
	v_pk_fma_f32 v[34:35], v[32:33], v[30:31], v[34:35] op_sel:[0,0,1] op_sel_hi:[1,0,0] neg_lo:[0,0,1] neg_hi:[0,0,1]
	v_lshl_or_b32 v3, v3, 3, v229
	global_load_dwordx2 v[32:33], v7, s[4:5]
	global_load_dwordx2 v[36:37], v11, s[4:5] offset:2048
	global_load_dwordx2 v[56:57], v3, s[4:5]
	v_or_b32_e32 v30, 0x90, v176
	v_mul_lo_u32 v3, v44, v30
	v_lshlrev_b32_sdwa v7, v230, v3 dst_sel:DWORD dst_unused:UNUSED_PAD src0_sel:DWORD src1_sel:BYTE_0
	global_load_dwordx2 v[60:61], v7, s[4:5]
	v_mov_b32_e32 v27, v31
	v_mov_b32_e32 v29, v35
	s_waitcnt vmcnt(2)
	v_mul_f32_e32 v7, v33, v36
	v_fmac_f32_e32 v7, v32, v37
	v_pk_mul_f32 v[32:33], v[32:33], v[36:37]
	v_pk_add_f32 v[36:37], v[208:209], v[54:55]
	v_pk_add_f32 v[36:37], v[210:211], v[36:37]
	;; [unrolled: 1-line block ×3, first 2 shown]
	v_sub_f32_e32 v11, v32, v33
	v_pk_add_f32 v[36:37], v[218:219], v[36:37]
	s_waitcnt vmcnt(1)
	v_mul_f32_e32 v32, v11, v57
	v_pk_add_f32 v[36:37], v[222:223], v[36:37]
	v_fmac_f32_e32 v32, v56, v7
	v_mul_f32_e32 v7, v7, v57
	v_pk_add_f32 v[36:37], v[226:227], v[36:37]
	v_fma_f32 v34, v56, v11, -v7
	v_pk_mul_f32 v[56:57], v[36:37], v[32:33] op_sel_hi:[1,0]
	v_lshlrev_b32_sdwa v7, v230, v3 dst_sel:DWORD dst_unused:UNUSED_PAD src0_sel:DWORD src1_sel:BYTE_1
	v_bfe_u32 v3, v3, 16, 8
	v_pk_fma_f32 v[32:33], v[36:37], v[34:35], v[56:57] op_sel:[0,0,1] op_sel_hi:[1,1,0]
	v_pk_fma_f32 v[56:57], v[36:37], v[34:35], v[56:57] op_sel:[0,0,1] op_sel_hi:[1,0,0] neg_lo:[0,0,1] neg_hi:[0,0,1]
	v_lshl_or_b32 v3, v3, 3, v229
	global_load_dwordx2 v[36:37], v7, s[4:5] offset:2048
	global_load_dwordx2 v[168:169], v3, s[4:5]
	v_or_b32_e32 v34, 0xa0, v176
	v_mul_lo_u32 v3, v44, v34
	v_lshlrev_b32_sdwa v7, v230, v3 dst_sel:DWORD dst_unused:UNUSED_PAD src0_sel:DWORD src1_sel:BYTE_0
	v_lshlrev_b32_sdwa v11, v230, v3 dst_sel:DWORD dst_unused:UNUSED_PAD src0_sel:DWORD src1_sel:BYTE_1
	global_load_dwordx2 v[170:171], v7, s[4:5]
	global_load_dwordx2 v[172:173], v11, s[4:5] offset:2048
	v_or_b32_e32 v56, 0xb0, v176
	v_bfe_u32 v3, v3, 16, 8
	v_mul_lo_u32 v15, v44, v56
	v_lshl_or_b32 v3, v3, 3, v229
	v_lshlrev_b32_sdwa v19, v230, v15 dst_sel:DWORD dst_unused:UNUSED_PAD src0_sel:DWORD src1_sel:BYTE_0
	v_lshlrev_b32_sdwa v23, v230, v15 dst_sel:DWORD dst_unused:UNUSED_PAD src0_sel:DWORD src1_sel:BYTE_1
	v_bfe_u32 v15, v15, 16, 8
	v_lshl_or_b32 v15, v15, 3, v229
	v_mov_b32_e32 v33, v57
	s_waitcnt vmcnt(3)
	v_mul_f32_e32 v7, v61, v36
	v_fmac_f32_e32 v7, v60, v37
	v_pk_mul_f32 v[36:37], v[60:61], v[36:37]
	v_pk_add_f32 v[60:61], v[180:181], v[54:55]
	v_pk_add_f32 v[60:61], v[184:185], v[60:61]
	;; [unrolled: 1-line block ×3, first 2 shown]
	v_sub_f32_e32 v11, v36, v37
	v_pk_add_f32 v[60:61], v[192:193], v[60:61]
	s_waitcnt vmcnt(2)
	v_mul_f32_e32 v36, v11, v169
	v_pk_add_f32 v[60:61], v[196:197], v[60:61]
	v_fmac_f32_e32 v36, v168, v7
	v_mul_f32_e32 v7, v7, v169
	v_pk_add_f32 v[60:61], v[200:201], v[60:61]
	v_fma_f32 v48, v168, v11, -v7
	v_pk_mul_f32 v[168:169], v[60:61], v[36:37] op_sel_hi:[1,0]
	v_pk_fma_f32 v[36:37], v[60:61], v[48:49], v[168:169] op_sel:[0,0,1] op_sel_hi:[1,1,0]
	v_pk_fma_f32 v[60:61], v[60:61], v[48:49], v[168:169] op_sel:[0,0,1] op_sel_hi:[1,0,0] neg_lo:[0,0,1] neg_hi:[0,0,1]
	s_waitcnt vmcnt(0)
	v_mul_f32_e32 v7, v171, v172
	v_pk_mul_f32 v[168:169], v[170:171], v[172:173]
	v_fmac_f32_e32 v7, v170, v173
	v_sub_f32_e32 v11, v168, v169
	global_load_dwordx2 v[168:169], v3, s[4:5]
	global_load_dwordx2 v[170:171], v19, s[4:5]
	global_load_dwordx2 v[172:173], v23, s[4:5] offset:2048
	global_load_dwordx2 v[174:175], v15, s[4:5]
	v_pk_add_f32 v[54:55], v[116:117], v[54:55]
	v_pk_add_f32 v[54:55], v[120:121], v[54:55]
	;; [unrolled: 1-line block ×6, first 2 shown]
	v_or_b32_e32 v15, 64, v45
	v_mul_lo_u32 v15, v44, v15
	v_mov_b32_e32 v37, v61
	s_waitcnt vmcnt(3)
	v_mul_f32_e32 v48, v11, v169
	v_fmac_f32_e32 v48, v168, v7
	v_mul_f32_e32 v3, v7, v169
	v_fma_f32 v60, v168, v11, -v3
	v_pk_mul_f32 v[148:149], v[62:63], v[48:49] op_sel_hi:[1,0]
	v_pk_fma_f32 v[58:59], v[62:63], v[60:61], v[148:149] op_sel:[0,0,1] op_sel_hi:[1,1,0]
	v_pk_fma_f32 v[62:63], v[62:63], v[60:61], v[148:149] op_sel:[0,0,1] op_sel_hi:[1,0,0] neg_lo:[0,0,1] neg_hi:[0,0,1]
	s_waitcnt vmcnt(1)
	v_pk_mul_f32 v[148:149], v[170:171], v[172:173]
	v_mul_f32_e32 v3, v171, v172
	v_sub_f32_e32 v7, v148, v149
	v_fmac_f32_e32 v3, v170, v173
	s_waitcnt vmcnt(0)
	v_mul_f32_e32 v48, v7, v175
	v_fmac_f32_e32 v48, v174, v3
	v_mul_f32_e32 v3, v3, v175
	v_or_b32_e32 v60, 0xc0, v176
	v_fma_f32 v62, v174, v7, -v3
	v_mul_lo_u32 v3, v44, v60
	v_lshlrev_b32_sdwa v7, v230, v3 dst_sel:DWORD dst_unused:UNUSED_PAD src0_sel:DWORD src1_sel:BYTE_0
	v_lshlrev_b32_sdwa v11, v230, v3 dst_sel:DWORD dst_unused:UNUSED_PAD src0_sel:DWORD src1_sel:BYTE_1
	global_load_dwordx2 v[132:133], v7, s[4:5]
	global_load_dwordx2 v[138:139], v11, s[4:5] offset:2048
	v_bfe_u32 v3, v3, 16, 8
	v_lshl_or_b32 v3, v3, 3, v229
	global_load_dwordx2 v[140:141], v3, s[4:5]
	v_mul_lo_u32 v3, v44, v45
	v_lshlrev_b32_sdwa v7, v230, v3 dst_sel:DWORD dst_unused:UNUSED_PAD src0_sel:DWORD src1_sel:BYTE_0
	global_load_dwordx2 v[134:135], v7, s[4:5]
	v_lshlrev_b32_sdwa v7, v230, v3 dst_sel:DWORD dst_unused:UNUSED_PAD src0_sel:DWORD src1_sel:BYTE_1
	global_load_dwordx2 v[136:137], v7, s[4:5] offset:2048
	v_bfe_u32 v3, v3, 16, 8
	v_lshl_or_b32 v3, v3, 3, v229
	global_load_dwordx2 v[142:143], v3, s[4:5]
	v_pk_mul_f32 v[128:129], v[66:67], v[48:49] op_sel_hi:[1,0]
	v_pk_fma_f32 v[64:65], v[66:67], v[62:63], v[128:129] op_sel:[0,0,1] op_sel_hi:[1,1,0]
	v_pk_fma_f32 v[66:67], v[66:67], v[62:63], v[128:129] op_sel:[0,0,1] op_sel_hi:[1,0,0] neg_lo:[0,0,1] neg_hi:[0,0,1]
	v_pk_add_f32 v[168:169], v[74:75], v[72:73] neg_lo:[0,1] neg_hi:[0,1]
	v_pk_add_f32 v[170:171], v[84:85], v[90:91]
	v_pk_add_f32 v[176:177], v[84:85], v[90:91] neg_lo:[0,1] neg_hi:[0,1]
	v_pk_add_f32 v[172:173], v[82:83], v[86:87] neg_lo:[0,1] neg_hi:[0,1]
	v_mov_b32_e32 v59, v63
	v_mov_b32_e32 v65, v67
	s_waitcnt vmcnt(4)
	v_pk_mul_f32 v[128:129], v[132:133], v[138:139]
	v_mul_f32_e32 v3, v133, v138
	v_sub_f32_e32 v7, v128, v129
	v_fmac_f32_e32 v3, v132, v139
	s_waitcnt vmcnt(3)
	v_mul_f32_e32 v48, v7, v141
	v_fmac_f32_e32 v48, v140, v3
	v_mul_f32_e32 v3, v3, v141
	v_fma_f32 v62, v140, v7, -v3
	v_pk_mul_f32 v[70:71], v[68:69], v[48:49] op_sel_hi:[1,0]
	v_pk_fma_f32 v[54:55], v[68:69], v[62:63], v[70:71] op_sel:[0,0,1] op_sel_hi:[1,1,0]
	v_pk_fma_f32 v[68:69], v[68:69], v[62:63], v[70:71] op_sel:[0,0,1] op_sel_hi:[1,0,0] neg_lo:[0,0,1] neg_hi:[0,0,1]
	s_waitcnt vmcnt(1)
	v_pk_mul_f32 v[70:71], v[134:135], v[136:137]
	v_mov_b32_e32 v48, v71
	v_pk_fma_f32 v[70:71], v[134:135], v[136:137], v[48:49] neg_lo:[0,0,1] neg_hi:[0,0,1]
	v_mov_b32_e32 v48, v137
	v_or_b32_e32 v3, 16, v45
	v_pk_mul_f32 v[108:109], v[134:135], v[48:49]
	v_mov_b32_e32 v48, v135
	v_mul_lo_u32 v3, v44, v3
	v_pk_fma_f32 v[108:109], v[48:49], v[136:137], v[108:109]
	v_mov_b32_e32 v48, v39
	v_lshlrev_b32_sdwa v7, v230, v3 dst_sel:DWORD dst_unused:UNUSED_PAD src0_sel:DWORD src1_sel:BYTE_0
	v_lshlrev_b32_sdwa v11, v230, v3 dst_sel:DWORD dst_unused:UNUSED_PAD src0_sel:DWORD src1_sel:BYTE_1
	v_bfe_u32 v3, v3, 16, 8
	v_pk_mul_f32 v[112:113], v[110:111], v[48:49]
	global_load_dwordx2 v[114:115], v7, s[4:5]
	global_load_dwordx2 v[116:117], v11, s[4:5] offset:2048
	v_lshl_or_b32 v3, v3, 3, v229
	v_pk_fma_f32 v[52:53], v[52:53], v[38:39], v[112:113]
	v_pk_mul_f32 v[112:113], v[110:111], v[38:39]
	global_load_dwordx2 v[118:119], v3, s[4:5]
	v_mov_b32_e32 v3, v112
	v_pk_fma_f32 v[38:39], v[110:111], v[38:39], v[2:3] neg_lo:[1,0,0] neg_hi:[1,0,0]
	v_or_b32_e32 v3, 32, v45
	v_mul_lo_u32 v3, v44, v3
	v_lshlrev_b32_sdwa v7, v230, v3 dst_sel:DWORD dst_unused:UNUSED_PAD src0_sel:DWORD src1_sel:BYTE_0
	v_lshlrev_b32_sdwa v11, v230, v3 dst_sel:DWORD dst_unused:UNUSED_PAD src0_sel:DWORD src1_sel:BYTE_1
	global_load_dwordx2 v[94:95], v7, s[4:5]
	global_load_dwordx2 v[96:97], v11, s[4:5] offset:2048
	v_bfe_u32 v3, v3, 16, 8
	v_lshl_or_b32 v3, v3, 3, v229
	global_load_dwordx2 v[98:99], v3, s[4:5]
	v_mov_b32_e32 v110, v41
	v_mov_b32_e32 v111, v40
	v_pk_mul_f32 v[40:41], v[50:51], v[40:41] op_sel_hi:[0,1]
	v_mov_b32_e32 v38, v51
	v_mov_b32_e32 v48, v51
	v_pk_fma_f32 v[50:51], v[38:39], v[110:111], v[40:41]
	v_mov_b32_e32 v53, v39
	v_add_f32_e32 v38, v46, v74
	v_add_f32_e32 v39, v49, v75
	v_pk_fma_f32 v[40:41], v[48:49], v[110:111], v[40:41] op_sel_hi:[0,1,1] neg_lo:[0,0,1] neg_hi:[0,0,1]
	v_pk_add_f32 v[38:39], v[38:39], v[78:79]
	v_mov_b32_e32 v51, v41
	v_pk_add_f32 v[38:39], v[38:39], v[52:53]
	v_pk_add_f32 v[38:39], v[38:39], v[50:51]
	;; [unrolled: 1-line block ×8, first 2 shown]
	s_waitcnt vmcnt(6)
	v_pk_mul_f32 v[108:109], v[108:109], v[142:143] op_sel_hi:[0,1]
	v_pk_add_f32 v[38:39], v[38:39], v[76:77]
	v_pk_fma_f32 v[110:111], v[142:143], v[70:71], v[108:109] op_sel:[0,0,1] op_sel_hi:[1,0,0] neg_lo:[0,0,1] neg_hi:[0,0,1]
	v_pk_fma_f32 v[70:71], v[142:143], v[70:71], v[108:109] op_sel:[0,0,1] op_sel_hi:[1,0,0]
	v_pk_add_f32 v[40:41], v[38:39], v[72:73]
	v_pk_mul_f32 v[92:93], v[40:41], v[70:71]
	v_mov_b32_e32 v38, v110
	v_mov_b32_e32 v39, v71
	;; [unrolled: 1-line block ×3, first 2 shown]
	v_pk_fma_f32 v[38:39], v[40:41], v[38:39], v[48:49]
	v_mov_b32_e32 v48, v71
	v_pk_mul_f32 v[70:71], v[40:41], v[48:49]
	v_mov_b32_e32 v40, v41
	v_pk_mul_f32 v[72:73], v[168:169], s[48:49] op_sel:[1,0] op_sel_hi:[0,0]
	v_pk_fma_f32 v[40:41], v[40:41], v[110:111], v[70:71] neg_lo:[0,0,1] neg_hi:[0,0,1]
	v_pk_fma_f32 v[70:71], v[160:161], s[14:15], v[72:73] op_sel_hi:[1,0,1]
	v_pk_fma_f32 v[72:73], v[160:161], s[14:15], v[72:73] op_sel_hi:[1,0,1] neg_lo:[0,0,1] neg_hi:[0,0,1]
	v_mov_b32_e32 v74, v70
	v_mov_b32_e32 v75, v73
	v_pk_mul_f32 v[76:77], v[158:159], s[26:27] op_sel:[1,0] op_sel_hi:[0,0]
	v_pk_add_f32 v[78:79], v[46:47], v[74:75]
	v_pk_fma_f32 v[74:75], v[154:155], s[6:7], v[76:77] op_sel_hi:[1,0,1]
	v_pk_fma_f32 v[76:77], v[154:155], s[6:7], v[76:77] op_sel_hi:[1,0,1] neg_lo:[0,0,1] neg_hi:[0,0,1]
	v_pk_add_f32 v[174:175], v[52:53], v[80:81] neg_lo:[0,1] neg_hi:[0,1]
	v_mov_b32_e32 v92, v74
	v_mov_b32_e32 v93, v77
	v_pk_add_f32 v[166:167], v[52:53], v[80:81]
	v_pk_mul_f32 v[52:53], v[174:175], s[40:41] op_sel:[1,0] op_sel_hi:[0,0]
	v_pk_add_f32 v[164:165], v[50:51], v[88:89] neg_lo:[0,1] neg_hi:[0,1]
	v_pk_add_f32 v[92:93], v[92:93], v[78:79]
	v_pk_fma_f32 v[78:79], v[166:167], s[16:17], v[52:53] op_sel_hi:[1,0,1]
	v_pk_fma_f32 v[80:81], v[166:167], s[16:17], v[52:53] op_sel_hi:[1,0,1] neg_lo:[0,0,1] neg_hi:[0,0,1]
	v_pk_add_f32 v[156:157], v[50:51], v[88:89]
	v_pk_mul_f32 v[50:51], v[164:165], s[20:21] op_sel_hi:[1,0]
	v_mov_b32_e32 v52, v78
	v_mov_b32_e32 v53, v81
	v_pk_fma_f32 v[82:83], v[156:157], s[18:19], v[50:51] op_sel:[0,0,1] op_sel_hi:[1,0,0]
	v_pk_fma_f32 v[84:85], v[156:157], s[18:19], v[50:51] op_sel:[0,0,1] op_sel_hi:[1,0,0] neg_lo:[0,0,1] neg_hi:[0,0,1]
	v_pk_add_f32 v[52:53], v[52:53], v[92:93]
	v_mov_b32_e32 v50, v82
	v_mov_b32_e32 v51, v85
	v_pk_add_f32 v[50:51], v[50:51], v[52:53]
	v_pk_mul_f32 v[52:53], v[176:177], s[24:25] op_sel:[1,0] op_sel_hi:[0,0]
	v_pk_fma_f32 v[88:89], v[170:171], s[22:23], v[52:53] op_sel_hi:[1,0,1]
	v_pk_fma_f32 v[86:87], v[170:171], s[22:23], v[52:53] op_sel_hi:[1,0,1] neg_lo:[0,0,1] neg_hi:[0,0,1]
	v_mov_b32_e32 v52, v88
	v_mov_b32_e32 v53, v87
	s_waitcnt vmcnt(4)
	v_pk_mul_f32 v[48:49], v[114:115], v[116:117]
	v_pk_add_f32 v[50:51], v[52:53], v[50:51]
	v_pk_mul_f32 v[52:53], v[172:173], s[30:31] op_sel:[1,0] op_sel_hi:[0,0]
	v_mul_f32_e32 v3, v115, v116
	v_sub_f32_e32 v7, v48, v49
	v_pk_fma_f32 v[92:93], v[162:163], s[28:29], v[52:53] op_sel_hi:[1,0,1]
	v_pk_fma_f32 v[90:91], v[162:163], s[28:29], v[52:53] op_sel_hi:[1,0,1] neg_lo:[0,0,1] neg_hi:[0,0,1]
	v_fmac_f32_e32 v3, v114, v117
	s_waitcnt vmcnt(3)
	v_mul_f32_e32 v48, v7, v119
	v_mov_b32_e32 v52, v92
	v_mov_b32_e32 v53, v91
	v_fmac_f32_e32 v48, v118, v3
	v_mul_f32_e32 v3, v3, v119
	v_pk_add_f32 v[50:51], v[52:53], v[50:51]
	v_fma_f32 v62, v118, v7, -v3
	v_pk_mul_f32 v[52:53], v[50:51], v[48:49] op_sel_hi:[1,0]
	v_pk_fma_f32 v[48:49], v[50:51], v[62:63], v[52:53] op_sel:[0,0,1] op_sel_hi:[1,1,0]
	v_pk_fma_f32 v[52:53], v[50:51], v[62:63], v[52:53] op_sel:[0,0,1] op_sel_hi:[1,0,0] neg_lo:[0,0,1] neg_hi:[0,0,1]
	s_waitcnt vmcnt(1)
	v_pk_mul_f32 v[50:51], v[94:95], v[96:97]
	v_mul_f32_e32 v3, v95, v96
	v_sub_f32_e32 v7, v50, v51
	v_fmac_f32_e32 v3, v94, v97
	s_waitcnt vmcnt(0)
	v_mul_f32_e32 v50, v7, v99
	v_fmac_f32_e32 v50, v98, v3
	v_mul_f32_e32 v3, v3, v99
	v_pk_mul_f32 v[94:95], v[168:169], s[26:27] op_sel:[1,0] op_sel_hi:[0,0]
	v_fma_f32 v52, v98, v7, -v3
	v_pk_fma_f32 v[98:99], v[160:161], s[6:7], v[94:95] op_sel_hi:[1,0,1]
	v_pk_fma_f32 v[96:97], v[160:161], s[6:7], v[94:95] op_sel_hi:[1,0,1] neg_lo:[0,0,1] neg_hi:[0,0,1]
	v_mov_b32_e32 v94, v98
	v_mov_b32_e32 v95, v97
	v_pk_add_f32 v[94:95], v[46:47], v[94:95]
	v_pk_add_f32 v[94:95], v[100:101], v[94:95]
	v_pk_mul_f32 v[100:101], v[174:175], s[30:31] op_sel:[1,0] op_sel_hi:[0,0]
	v_pk_fma_f32 v[110:111], v[166:167], s[28:29], v[100:101] op_sel_hi:[1,0,1]
	v_pk_fma_f32 v[112:113], v[166:167], s[28:29], v[100:101] op_sel_hi:[1,0,1] neg_lo:[0,0,1] neg_hi:[0,0,1]
	v_mov_b32_e32 v100, v110
	v_mov_b32_e32 v101, v113
	v_pk_mul_f32 v[102:103], v[164:165], s[44:45] op_sel_hi:[1,0]
	v_pk_add_f32 v[94:95], v[100:101], v[94:95]
	v_pk_fma_f32 v[100:101], v[156:157], s[22:23], v[102:103] op_sel:[0,0,1] op_sel_hi:[1,0,0]
	v_pk_fma_f32 v[102:103], v[156:157], s[22:23], v[102:103] op_sel:[0,0,1] op_sel_hi:[1,0,0] neg_lo:[0,0,1] neg_hi:[0,0,1]
	v_mov_b32_e32 v108, v100
	v_mov_b32_e32 v109, v103
	v_pk_add_f32 v[94:95], v[108:109], v[94:95]
	v_pk_mul_f32 v[108:109], v[176:177], s[34:35] op_sel:[1,0] op_sel_hi:[0,0]
	v_pk_fma_f32 v[114:115], v[170:171], s[16:17], v[108:109] op_sel_hi:[1,0,1]
	v_pk_fma_f32 v[108:109], v[170:171], s[16:17], v[108:109] op_sel_hi:[1,0,1] neg_lo:[0,0,1] neg_hi:[0,0,1]
	v_mov_b32_e32 v116, v114
	v_mov_b32_e32 v117, v109
	v_pk_add_f32 v[94:95], v[116:117], v[94:95]
	v_pk_mul_f32 v[116:117], v[172:173], s[36:37] op_sel:[1,0] op_sel_hi:[0,0]
	v_pk_fma_f32 v[118:119], v[162:163], s[14:15], v[116:117] op_sel_hi:[1,0,1]
	v_pk_fma_f32 v[116:117], v[162:163], s[14:15], v[116:117] op_sel_hi:[1,0,1] neg_lo:[0,0,1] neg_hi:[0,0,1]
	v_mov_b32_e32 v120, v118
	v_mov_b32_e32 v121, v117
	v_or_b32_e32 v3, 48, v45
	v_pk_add_f32 v[94:95], v[120:121], v[94:95]
	v_mul_lo_u32 v3, v44, v3
	v_pk_mul_f32 v[120:121], v[94:95], v[50:51] op_sel_hi:[1,0]
	v_lshlrev_b32_sdwa v7, v230, v3 dst_sel:DWORD dst_unused:UNUSED_PAD src0_sel:DWORD src1_sel:BYTE_0
	v_lshlrev_b32_sdwa v11, v230, v3 dst_sel:DWORD dst_unused:UNUSED_PAD src0_sel:DWORD src1_sel:BYTE_1
	v_bfe_u32 v3, v3, 16, 8
	v_pk_fma_f32 v[50:51], v[94:95], v[52:53], v[120:121] op_sel:[0,0,1] op_sel_hi:[1,1,0]
	v_pk_fma_f32 v[94:95], v[94:95], v[52:53], v[120:121] op_sel:[0,0,1] op_sel_hi:[1,0,0] neg_lo:[0,0,1] neg_hi:[0,0,1]
	v_lshl_or_b32 v3, v3, 3, v229
	global_load_dwordx2 v[120:121], v7, s[4:5]
	global_load_dwordx2 v[122:123], v11, s[4:5] offset:2048
	global_load_dwordx2 v[124:125], v3, s[4:5]
	v_lshlrev_b32_sdwa v3, v230, v15 dst_sel:DWORD dst_unused:UNUSED_PAD src0_sel:DWORD src1_sel:BYTE_0
	global_load_dwordx2 v[126:127], v3, s[4:5]
	v_or_b32_e32 v11, 0x50, v45
	v_mul_lo_u32 v11, v44, v11
	v_mov_b32_e32 v97, v99
	v_pk_add_f32 v[96:97], v[46:47], v[96:97]
	v_pk_add_f32 v[96:97], v[104:105], v[96:97]
	v_mov_b32_e32 v113, v111
	v_pk_add_f32 v[96:97], v[112:113], v[96:97]
	v_mov_b32_e32 v103, v101
	v_mov_b32_e32 v109, v115
	v_pk_add_f32 v[96:97], v[102:103], v[96:97]
	v_mov_b32_e32 v117, v119
	v_pk_add_f32 v[96:97], v[108:109], v[96:97]
	v_pk_add_f32 v[96:97], v[116:117], v[96:97]
	v_mov_b32_e32 v55, v69
	v_mov_b32_e32 v39, v40
	;; [unrolled: 1-line block ×10, first 2 shown]
	s_waitcnt vmcnt(2)
	v_mul_f32_e32 v3, v121, v122
	v_fmac_f32_e32 v3, v120, v123
	v_pk_mul_f32 v[120:121], v[120:121], v[122:123]
	v_sub_f32_e32 v7, v120, v121
	v_pk_mul_f32 v[120:121], v[168:169], s[40:41] op_sel:[1,0] op_sel_hi:[0,0]
	v_pk_fma_f32 v[130:131], v[160:161], s[16:17], v[120:121] op_sel_hi:[1,0,1]
	v_pk_fma_f32 v[128:129], v[160:161], s[16:17], v[120:121] op_sel_hi:[1,0,1] neg_lo:[0,0,1] neg_hi:[0,0,1]
	v_pk_mul_f32 v[122:123], v[158:159], s[30:31] op_sel:[1,0] op_sel_hi:[0,0]
	v_mov_b32_e32 v120, v130
	v_mov_b32_e32 v121, v129
	v_pk_fma_f32 v[134:135], v[154:155], s[28:29], v[122:123] op_sel_hi:[1,0,1]
	v_pk_fma_f32 v[132:133], v[154:155], s[28:29], v[122:123] op_sel_hi:[1,0,1] neg_lo:[0,0,1] neg_hi:[0,0,1]
	v_pk_add_f32 v[120:121], v[46:47], v[120:121]
	v_mov_b32_e32 v122, v134
	v_mov_b32_e32 v123, v133
	v_pk_add_f32 v[120:121], v[122:123], v[120:121]
	v_pk_mul_f32 v[122:123], v[174:175], s[46:47] op_sel:[1,0] op_sel_hi:[0,0]
	v_pk_fma_f32 v[140:141], v[166:167], s[18:19], v[122:123] op_sel_hi:[1,0,1]
	v_pk_fma_f32 v[142:143], v[166:167], s[18:19], v[122:123] op_sel_hi:[1,0,1] neg_lo:[0,0,1] neg_hi:[0,0,1]
	v_mov_b32_e32 v122, v140
	v_mov_b32_e32 v123, v143
	v_pk_add_f32 v[120:121], v[122:123], v[120:121]
	v_pk_mul_f32 v[122:123], v[164:165], s[36:37] op_sel_hi:[1,0]
	v_pk_fma_f32 v[136:137], v[156:157], s[14:15], v[122:123] op_sel:[0,0,1] op_sel_hi:[1,0,0]
	v_pk_fma_f32 v[138:139], v[156:157], s[14:15], v[122:123] op_sel:[0,0,1] op_sel_hi:[1,0,0] neg_lo:[0,0,1] neg_hi:[0,0,1]
	v_mov_b32_e32 v122, v136
	v_mov_b32_e32 v123, v139
	v_pk_add_f32 v[120:121], v[122:123], v[120:121]
	v_pk_mul_f32 v[122:123], v[176:177], s[26:27] op_sel:[1,0] op_sel_hi:[0,0]
	v_pk_fma_f32 v[146:147], v[170:171], s[6:7], v[122:123] op_sel_hi:[1,0,1]
	v_pk_fma_f32 v[144:145], v[170:171], s[6:7], v[122:123] op_sel_hi:[1,0,1] neg_lo:[0,0,1] neg_hi:[0,0,1]
	v_mov_b32_e32 v122, v146
	v_mov_b32_e32 v123, v145
	v_pk_add_f32 v[120:121], v[122:123], v[120:121]
	v_pk_mul_f32 v[122:123], v[172:173], s[24:25] op_sel:[1,0] op_sel_hi:[0,0]
	v_pk_fma_f32 v[150:151], v[162:163], s[22:23], v[122:123] op_sel_hi:[1,0,1]
	v_pk_fma_f32 v[148:149], v[162:163], s[22:23], v[122:123] op_sel_hi:[1,0,1] neg_lo:[0,0,1] neg_hi:[0,0,1]
	s_waitcnt vmcnt(1)
	v_mul_f32_e32 v52, v7, v125
	v_mov_b32_e32 v122, v150
	v_mov_b32_e32 v123, v149
	v_fmac_f32_e32 v52, v124, v3
	v_mul_f32_e32 v3, v3, v125
	v_pk_add_f32 v[122:123], v[122:123], v[120:121]
	v_fma_f32 v62, v124, v7, -v3
	v_pk_mul_f32 v[124:125], v[122:123], v[52:53] op_sel_hi:[1,0]
	v_lshlrev_b32_sdwa v3, v230, v15 dst_sel:DWORD dst_unused:UNUSED_PAD src0_sel:DWORD src1_sel:BYTE_1
	v_bfe_u32 v7, v15, 16, 8
	v_pk_fma_f32 v[120:121], v[122:123], v[62:63], v[124:125] op_sel:[0,0,1] op_sel_hi:[1,1,0]
	v_pk_fma_f32 v[122:123], v[122:123], v[62:63], v[124:125] op_sel:[0,0,1] op_sel_hi:[1,0,0] neg_lo:[0,0,1] neg_hi:[0,0,1]
	v_lshl_or_b32 v7, v7, 3, v229
	global_load_dwordx2 v[124:125], v3, s[4:5] offset:2048
	global_load_dwordx2 v[152:153], v7, s[4:5]
	v_lshlrev_b32_sdwa v3, v230, v11 dst_sel:DWORD dst_unused:UNUSED_PAD src0_sel:DWORD src1_sel:BYTE_0
	v_lshlrev_b32_sdwa v7, v230, v11 dst_sel:DWORD dst_unused:UNUSED_PAD src0_sel:DWORD src1_sel:BYTE_1
	global_load_dwordx2 v[178:179], v3, s[4:5]
	global_load_dwordx2 v[204:205], v7, s[4:5] offset:2048
	v_or_b32_e32 v15, 0x60, v45
	v_bfe_u32 v11, v11, 16, 8
	v_mul_lo_u32 v15, v44, v15
	v_lshl_or_b32 v11, v11, 3, v229
	v_lshlrev_b32_sdwa v19, v230, v15 dst_sel:DWORD dst_unused:UNUSED_PAD src0_sel:DWORD src1_sel:BYTE_0
	v_lshlrev_b32_sdwa v23, v230, v15 dst_sel:DWORD dst_unused:UNUSED_PAD src0_sel:DWORD src1_sel:BYTE_1
	v_bfe_u32 v15, v15, 16, 8
	v_lshl_or_b32 v15, v15, 3, v229
	v_mov_b32_e32 v129, v131
	v_mov_b32_e32 v133, v135
	v_pk_add_f32 v[128:129], v[46:47], v[128:129]
	v_pk_add_f32 v[128:129], v[132:133], v[128:129]
	v_mov_b32_e32 v143, v141
	v_pk_add_f32 v[128:129], v[142:143], v[128:129]
	v_mov_b32_e32 v139, v137
	v_mov_b32_e32 v145, v147
	v_pk_add_f32 v[128:129], v[138:139], v[128:129]
	v_mov_b32_e32 v149, v151
	v_pk_add_f32 v[128:129], v[144:145], v[128:129]
	v_pk_add_f32 v[130:131], v[148:149], v[128:129]
	v_mov_b32_e32 v121, v123
	s_waitcnt vmcnt(3)
	v_mul_f32_e32 v3, v127, v124
	v_fmac_f32_e32 v3, v126, v125
	v_pk_mul_f32 v[124:125], v[126:127], v[124:125]
	v_sub_f32_e32 v7, v124, v125
	v_pk_mul_f32 v[124:125], v[168:169], s[20:21] op_sel:[1,0] op_sel_hi:[0,0]
	v_pk_fma_f32 v[182:183], v[160:161], s[18:19], v[124:125] op_sel_hi:[1,0,1]
	v_pk_fma_f32 v[180:181], v[160:161], s[18:19], v[124:125] op_sel_hi:[1,0,1] neg_lo:[0,0,1] neg_hi:[0,0,1]
	v_pk_mul_f32 v[126:127], v[158:159], s[44:45] op_sel:[1,0] op_sel_hi:[0,0]
	v_mov_b32_e32 v124, v182
	v_mov_b32_e32 v125, v181
	v_pk_fma_f32 v[186:187], v[154:155], s[22:23], v[126:127] op_sel_hi:[1,0,1]
	v_pk_fma_f32 v[184:185], v[154:155], s[22:23], v[126:127] op_sel_hi:[1,0,1] neg_lo:[0,0,1] neg_hi:[0,0,1]
	v_pk_add_f32 v[124:125], v[46:47], v[124:125]
	v_mov_b32_e32 v126, v186
	v_mov_b32_e32 v127, v185
	v_pk_add_f32 v[124:125], v[126:127], v[124:125]
	v_pk_mul_f32 v[126:127], v[174:175], s[36:37] op_sel:[1,0] op_sel_hi:[0,0]
	v_pk_fma_f32 v[188:189], v[166:167], s[14:15], v[126:127] op_sel_hi:[1,0,1]
	v_pk_fma_f32 v[190:191], v[166:167], s[14:15], v[126:127] op_sel_hi:[1,0,1] neg_lo:[0,0,1] neg_hi:[0,0,1]
	v_mov_b32_e32 v126, v188
	v_mov_b32_e32 v127, v191
	v_pk_add_f32 v[124:125], v[126:127], v[124:125]
	v_pk_mul_f32 v[126:127], v[164:165], s[40:41] op_sel_hi:[1,0]
	v_pk_fma_f32 v[192:193], v[156:157], s[16:17], v[126:127] op_sel:[0,0,1] op_sel_hi:[1,0,0]
	v_pk_fma_f32 v[194:195], v[156:157], s[16:17], v[126:127] op_sel:[0,0,1] op_sel_hi:[1,0,0] neg_lo:[0,0,1] neg_hi:[0,0,1]
	v_mov_b32_e32 v126, v192
	v_mov_b32_e32 v127, v195
	v_pk_add_f32 v[124:125], v[126:127], v[124:125]
	v_pk_mul_f32 v[126:127], v[176:177], s[42:43] op_sel:[1,0] op_sel_hi:[0,0]
	v_pk_fma_f32 v[198:199], v[170:171], s[28:29], v[126:127] op_sel_hi:[1,0,1]
	v_pk_fma_f32 v[196:197], v[170:171], s[28:29], v[126:127] op_sel_hi:[1,0,1] neg_lo:[0,0,1] neg_hi:[0,0,1]
	v_mov_b32_e32 v126, v198
	v_mov_b32_e32 v127, v197
	v_pk_add_f32 v[124:125], v[126:127], v[124:125]
	v_pk_mul_f32 v[126:127], v[172:173], s[38:39] op_sel:[1,0] op_sel_hi:[0,0]
	v_pk_fma_f32 v[202:203], v[162:163], s[6:7], v[126:127] op_sel_hi:[1,0,1]
	v_pk_fma_f32 v[200:201], v[162:163], s[6:7], v[126:127] op_sel_hi:[1,0,1] neg_lo:[0,0,1] neg_hi:[0,0,1]
	s_waitcnt vmcnt(2)
	v_mul_f32_e32 v52, v7, v153
	v_mov_b32_e32 v126, v202
	v_mov_b32_e32 v127, v201
	v_fmac_f32_e32 v52, v152, v3
	v_mul_f32_e32 v3, v3, v153
	v_pk_add_f32 v[126:127], v[126:127], v[124:125]
	v_fma_f32 v62, v152, v7, -v3
	v_pk_mul_f32 v[152:153], v[126:127], v[52:53] op_sel_hi:[1,0]
	v_pk_fma_f32 v[124:125], v[126:127], v[62:63], v[152:153] op_sel:[0,0,1] op_sel_hi:[1,1,0]
	v_pk_fma_f32 v[126:127], v[126:127], v[62:63], v[152:153] op_sel:[0,0,1] op_sel_hi:[1,0,0] neg_lo:[0,0,1] neg_hi:[0,0,1]
	s_waitcnt vmcnt(0)
	v_pk_mul_f32 v[152:153], v[178:179], v[204:205]
	v_sub_f32_e32 v7, v152, v153
	global_load_dwordx2 v[152:153], v11, s[4:5]
	global_load_dwordx2 v[232:233], v19, s[4:5]
	global_load_dwordx2 v[234:235], v23, s[4:5] offset:2048
	global_load_dwordx2 v[236:237], v15, s[4:5]
	v_mul_f32_e32 v3, v179, v204
	v_fmac_f32_e32 v3, v178, v205
	v_pk_mul_f32 v[178:179], v[158:159], s[34:35] op_sel:[1,0] op_sel_hi:[0,0]
	v_pk_fma_f32 v[210:211], v[154:155], s[16:17], v[178:179] op_sel_hi:[1,0,1]
	v_pk_fma_f32 v[208:209], v[154:155], s[16:17], v[178:179] op_sel_hi:[1,0,1] neg_lo:[0,0,1] neg_hi:[0,0,1]
	v_mov_b32_e32 v178, v210
	v_mov_b32_e32 v179, v209
	v_pk_mul_f32 v[158:159], v[158:159], s[36:37] op_sel:[1,0] op_sel_hi:[0,0]
	v_or_b32_e32 v15, 0x80, v45
	v_mul_lo_u32 v15, v44, v15
	v_mov_b32_e32 v209, v211
	v_mov_b32_e32 v181, v183
	;; [unrolled: 1-line block ×8, first 2 shown]
	s_waitcnt vmcnt(3)
	v_mul_f32_e32 v52, v7, v153
	v_fmac_f32_e32 v52, v152, v3
	v_mul_f32_e32 v3, v3, v153
	v_fma_f32 v62, v152, v7, -v3
	v_pk_mul_f32 v[152:153], v[168:169], s[24:25] op_sel:[1,0] op_sel_hi:[0,0]
	v_pk_fma_f32 v[206:207], v[160:161], s[22:23], v[152:153] op_sel_hi:[1,0,1]
	v_pk_fma_f32 v[204:205], v[160:161], s[22:23], v[152:153] op_sel_hi:[1,0,1] neg_lo:[0,0,1] neg_hi:[0,0,1]
	v_mov_b32_e32 v152, v206
	v_mov_b32_e32 v153, v205
	v_pk_add_f32 v[152:153], v[46:47], v[152:153]
	v_pk_add_f32 v[152:153], v[178:179], v[152:153]
	v_pk_mul_f32 v[178:179], v[174:175], s[26:27] op_sel:[1,0] op_sel_hi:[0,0]
	v_pk_fma_f32 v[212:213], v[166:167], s[6:7], v[178:179] op_sel_hi:[1,0,1]
	v_pk_fma_f32 v[214:215], v[166:167], s[6:7], v[178:179] op_sel_hi:[1,0,1] neg_lo:[0,0,1] neg_hi:[0,0,1]
	v_mov_b32_e32 v178, v212
	v_mov_b32_e32 v179, v215
	v_pk_add_f32 v[152:153], v[178:179], v[152:153]
	v_pk_mul_f32 v[178:179], v[164:165], s[42:43] op_sel_hi:[1,0]
	v_pk_fma_f32 v[216:217], v[156:157], s[28:29], v[178:179] op_sel:[0,0,1] op_sel_hi:[1,0,0]
	v_pk_fma_f32 v[218:219], v[156:157], s[28:29], v[178:179] op_sel:[0,0,1] op_sel_hi:[1,0,0] neg_lo:[0,0,1] neg_hi:[0,0,1]
	s_waitcnt vmcnt(1)
	v_mul_f32_e32 v3, v233, v234
	v_mov_b32_e32 v178, v216
	v_mov_b32_e32 v179, v219
	v_fmac_f32_e32 v3, v232, v235
	v_pk_mul_f32 v[232:233], v[232:233], v[234:235]
	v_pk_mul_f32 v[168:169], v[168:169], s[30:31] op_sel:[1,0] op_sel_hi:[0,0]
	v_pk_add_f32 v[152:153], v[178:179], v[152:153]
	v_pk_mul_f32 v[178:179], v[176:177], s[36:37] op_sel:[1,0] op_sel_hi:[0,0]
	v_sub_f32_e32 v7, v232, v233
	v_pk_fma_f32 v[232:233], v[160:161], s[28:29], v[168:169] op_sel_hi:[1,0,1]
	v_pk_fma_f32 v[160:161], v[160:161], s[28:29], v[168:169] op_sel_hi:[1,0,1] neg_lo:[0,0,1] neg_hi:[0,0,1]
	v_pk_fma_f32 v[222:223], v[170:171], s[14:15], v[178:179] op_sel_hi:[1,0,1]
	v_pk_fma_f32 v[220:221], v[170:171], s[14:15], v[178:179] op_sel_hi:[1,0,1] neg_lo:[0,0,1] neg_hi:[0,0,1]
	;; [unrolled: 2-line block ×3, first 2 shown]
	v_mov_b32_e32 v154, v232
	v_mov_b32_e32 v155, v161
	;; [unrolled: 1-line block ×4, first 2 shown]
	v_pk_add_f32 v[154:155], v[46:47], v[154:155]
	v_mov_b32_e32 v234, v168
	v_mov_b32_e32 v235, v159
	v_pk_mul_f32 v[174:175], v[174:175], s[24:25] op_sel:[1,0] op_sel_hi:[0,0]
	v_pk_add_f32 v[152:153], v[178:179], v[152:153]
	v_pk_mul_f32 v[178:179], v[172:173], s[20:21] op_sel:[1,0] op_sel_hi:[0,0]
	v_pk_add_f32 v[154:155], v[234:235], v[154:155]
	v_pk_fma_f32 v[234:235], v[166:167], s[22:23], v[174:175] op_sel_hi:[1,0,1]
	v_pk_fma_f32 v[166:167], v[166:167], s[22:23], v[174:175] op_sel_hi:[1,0,1] neg_lo:[0,0,1] neg_hi:[0,0,1]
	v_pk_fma_f32 v[226:227], v[162:163], s[18:19], v[178:179] op_sel_hi:[1,0,1]
	v_pk_fma_f32 v[224:225], v[162:163], s[18:19], v[178:179] op_sel_hi:[1,0,1] neg_lo:[0,0,1] neg_hi:[0,0,1]
	v_mov_b32_e32 v174, v234
	v_mov_b32_e32 v175, v167
	v_mov_b32_e32 v178, v226
	v_mov_b32_e32 v179, v225
	v_pk_add_f32 v[154:155], v[174:175], v[154:155]
	v_pk_mul_f32 v[174:175], v[176:177], s[20:21] op_sel:[1,0] op_sel_hi:[0,0]
	v_pk_mul_f32 v[172:173], v[172:173], s[34:35] op_sel:[1,0] op_sel_hi:[0,0]
	v_pk_mul_f32 v[164:165], v[164:165], s[38:39] op_sel_hi:[1,0]
	v_pk_add_f32 v[178:179], v[178:179], v[152:153]
	v_pk_fma_f32 v[176:177], v[170:171], s[18:19], v[174:175] op_sel_hi:[1,0,1]
	v_pk_fma_f32 v[170:171], v[170:171], s[18:19], v[174:175] op_sel_hi:[1,0,1] neg_lo:[0,0,1] neg_hi:[0,0,1]
	v_pk_fma_f32 v[174:175], v[162:163], s[16:17], v[172:173] op_sel_hi:[1,0,1]
	v_pk_fma_f32 v[162:163], v[162:163], s[16:17], v[172:173] op_sel_hi:[1,0,1] neg_lo:[0,0,1] neg_hi:[0,0,1]
	v_pk_fma_f32 v[172:173], v[156:157], s[6:7], v[164:165] op_sel:[0,0,1] op_sel_hi:[1,0,0]
	v_pk_fma_f32 v[164:165], v[156:157], s[6:7], v[164:165] op_sel:[0,0,1] op_sel_hi:[1,0,0] neg_lo:[0,0,1] neg_hi:[0,0,1]
	v_pk_mul_f32 v[238:239], v[178:179], v[52:53] op_sel_hi:[1,0]
	s_waitcnt vmcnt(0)
	v_mul_f32_e32 v52, v7, v237
	v_mov_b32_e32 v156, v172
	v_mov_b32_e32 v157, v165
	v_fmac_f32_e32 v52, v236, v3
	v_mul_f32_e32 v3, v3, v237
	v_pk_add_f32 v[154:155], v[156:157], v[154:155]
	v_mov_b32_e32 v156, v176
	v_mov_b32_e32 v157, v171
	v_pk_fma_f32 v[152:153], v[178:179], v[62:63], v[238:239] op_sel:[0,0,1] op_sel_hi:[1,1,0]
	v_pk_fma_f32 v[178:179], v[178:179], v[62:63], v[238:239] op_sel:[0,0,1] op_sel_hi:[1,0,0] neg_lo:[0,0,1] neg_hi:[0,0,1]
	v_fma_f32 v62, v236, v7, -v3
	v_pk_add_f32 v[154:155], v[156:157], v[154:155]
	v_mov_b32_e32 v156, v174
	v_mov_b32_e32 v157, v163
	v_or_b32_e32 v3, 0x70, v45
	v_pk_add_f32 v[156:157], v[156:157], v[154:155]
	v_mul_lo_u32 v3, v44, v3
	v_pk_mul_f32 v[236:237], v[156:157], v[52:53] op_sel_hi:[1,0]
	v_lshlrev_b32_sdwa v7, v230, v3 dst_sel:DWORD dst_unused:UNUSED_PAD src0_sel:DWORD src1_sel:BYTE_0
	v_lshlrev_b32_sdwa v11, v230, v3 dst_sel:DWORD dst_unused:UNUSED_PAD src0_sel:DWORD src1_sel:BYTE_1
	v_bfe_u32 v3, v3, 16, 8
	v_pk_fma_f32 v[154:155], v[156:157], v[62:63], v[236:237] op_sel:[0,0,1] op_sel_hi:[1,1,0]
	v_pk_fma_f32 v[156:157], v[156:157], v[62:63], v[236:237] op_sel:[0,0,1] op_sel_hi:[1,0,0] neg_lo:[0,0,1] neg_hi:[0,0,1]
	v_lshl_or_b32 v3, v3, 3, v229
	global_load_dwordx2 v[236:237], v7, s[4:5]
	global_load_dwordx2 v[238:239], v11, s[4:5] offset:2048
	global_load_dwordx2 v[240:241], v3, s[4:5]
	v_mov_b32_e32 v161, v233
	v_lshlrev_b32_sdwa v3, v230, v15 dst_sel:DWORD dst_unused:UNUSED_PAD src0_sel:DWORD src1_sel:BYTE_0
	v_mov_b32_e32 v159, v169
	v_pk_add_f32 v[160:161], v[46:47], v[160:161]
	global_load_dwordx2 v[242:243], v3, s[4:5]
	v_pk_add_f32 v[158:159], v[158:159], v[160:161]
	v_mov_b32_e32 v167, v235
	v_pk_add_f32 v[158:159], v[166:167], v[158:159]
	v_mov_b32_e32 v165, v173
	v_mov_b32_e32 v171, v177
	v_pk_add_f32 v[158:159], v[164:165], v[158:159]
	v_mov_b32_e32 v163, v175
	v_pk_add_f32 v[158:159], v[170:171], v[158:159]
	v_pk_add_f32 v[160:161], v[162:163], v[158:159]
	v_or_b32_e32 v11, 0x90, v45
	v_mul_lo_u32 v11, v44, v11
	v_mov_b32_e32 v205, v207
	v_mov_b32_e32 v215, v213
	;; [unrolled: 1-line block ×7, first 2 shown]
	s_waitcnt vmcnt(2)
	v_mul_f32_e32 v3, v237, v238
	v_fmac_f32_e32 v3, v236, v239
	v_pk_mul_f32 v[236:237], v[236:237], v[238:239]
	v_sub_f32_e32 v7, v236, v237
	s_waitcnt vmcnt(1)
	v_mul_f32_e32 v52, v7, v241
	v_fmac_f32_e32 v52, v240, v3
	v_mul_f32_e32 v3, v3, v241
	v_fma_f32 v62, v240, v7, -v3
	v_pk_mul_f32 v[162:163], v[160:161], v[52:53] op_sel_hi:[1,0]
	v_lshlrev_b32_sdwa v3, v230, v15 dst_sel:DWORD dst_unused:UNUSED_PAD src0_sel:DWORD src1_sel:BYTE_1
	v_bfe_u32 v7, v15, 16, 8
	v_pk_fma_f32 v[158:159], v[160:161], v[62:63], v[162:163] op_sel:[0,0,1] op_sel_hi:[1,1,0]
	v_pk_fma_f32 v[160:161], v[160:161], v[62:63], v[162:163] op_sel:[0,0,1] op_sel_hi:[1,0,0] neg_lo:[0,0,1] neg_hi:[0,0,1]
	v_lshl_or_b32 v7, v7, 3, v229
	global_load_dwordx2 v[162:163], v3, s[4:5] offset:2048
	global_load_dwordx2 v[164:165], v7, s[4:5]
	v_lshlrev_b32_sdwa v3, v230, v11 dst_sel:DWORD dst_unused:UNUSED_PAD src0_sel:DWORD src1_sel:BYTE_0
	v_lshlrev_b32_sdwa v7, v230, v11 dst_sel:DWORD dst_unused:UNUSED_PAD src0_sel:DWORD src1_sel:BYTE_1
	global_load_dwordx2 v[166:167], v3, s[4:5]
	global_load_dwordx2 v[168:169], v7, s[4:5] offset:2048
	v_or_b32_e32 v15, 0xa0, v45
	v_bfe_u32 v11, v11, 16, 8
	v_mul_lo_u32 v15, v44, v15
	v_lshl_or_b32 v11, v11, 3, v229
	v_lshlrev_b32_sdwa v19, v230, v15 dst_sel:DWORD dst_unused:UNUSED_PAD src0_sel:DWORD src1_sel:BYTE_0
	v_lshlrev_b32_sdwa v23, v230, v15 dst_sel:DWORD dst_unused:UNUSED_PAD src0_sel:DWORD src1_sel:BYTE_1
	v_bfe_u32 v15, v15, 16, 8
	v_lshl_or_b32 v15, v15, 3, v229
	v_mov_b32_e32 v159, v161
	s_waitcnt vmcnt(3)
	v_mul_f32_e32 v3, v243, v162
	v_fmac_f32_e32 v3, v242, v163
	v_pk_mul_f32 v[162:163], v[242:243], v[162:163]
	v_sub_f32_e32 v7, v162, v163
	v_pk_add_f32 v[162:163], v[46:47], v[204:205]
	v_pk_add_f32 v[162:163], v[208:209], v[162:163]
	;; [unrolled: 1-line block ×3, first 2 shown]
	s_waitcnt vmcnt(2)
	v_mul_f32_e32 v52, v7, v165
	v_pk_add_f32 v[162:163], v[218:219], v[162:163]
	v_fmac_f32_e32 v52, v164, v3
	v_mul_f32_e32 v3, v3, v165
	v_pk_add_f32 v[162:163], v[220:221], v[162:163]
	v_fma_f32 v62, v164, v7, -v3
	v_pk_add_f32 v[164:165], v[224:225], v[162:163]
	s_waitcnt vmcnt(0)
	v_mul_f32_e32 v3, v167, v168
	v_pk_mul_f32 v[170:171], v[164:165], v[52:53] op_sel_hi:[1,0]
	v_fmac_f32_e32 v3, v166, v169
	v_pk_mul_f32 v[166:167], v[166:167], v[168:169]
	v_pk_fma_f32 v[162:163], v[164:165], v[62:63], v[170:171] op_sel:[0,0,1] op_sel_hi:[1,1,0]
	v_pk_fma_f32 v[164:165], v[164:165], v[62:63], v[170:171] op_sel:[0,0,1] op_sel_hi:[1,0,0] neg_lo:[0,0,1] neg_hi:[0,0,1]
	v_sub_f32_e32 v7, v166, v167
	global_load_dwordx2 v[166:167], v11, s[4:5]
	global_load_dwordx2 v[170:171], v19, s[4:5]
	global_load_dwordx2 v[172:173], v23, s[4:5] offset:2048
	global_load_dwordx2 v[174:175], v15, s[4:5]
	v_mov_b32_e32 v19, v21
	v_mov_b32_e32 v23, v25
	;; [unrolled: 1-line block ×3, first 2 shown]
	s_waitcnt vmcnt(3)
	v_mul_f32_e32 v52, v7, v167
	v_fmac_f32_e32 v52, v166, v3
	v_mul_f32_e32 v3, v3, v167
	v_fma_f32 v62, v166, v7, -v3
	v_pk_add_f32 v[166:167], v[46:47], v[180:181]
	v_pk_add_f32 v[166:167], v[184:185], v[166:167]
	;; [unrolled: 1-line block ×4, first 2 shown]
	s_waitcnt vmcnt(1)
	v_mul_f32_e32 v3, v171, v172
	v_pk_add_f32 v[166:167], v[196:197], v[166:167]
	v_fmac_f32_e32 v3, v170, v173
	v_pk_mul_f32 v[170:171], v[170:171], v[172:173]
	v_pk_add_f32 v[168:169], v[200:201], v[166:167]
	v_sub_f32_e32 v7, v170, v171
	v_pk_mul_f32 v[176:177], v[168:169], v[52:53] op_sel_hi:[1,0]
	s_waitcnt vmcnt(0)
	v_mul_f32_e32 v52, v7, v175
	v_fmac_f32_e32 v52, v174, v3
	v_mul_f32_e32 v3, v3, v175
	v_pk_fma_f32 v[166:167], v[168:169], v[62:63], v[176:177] op_sel:[0,0,1] op_sel_hi:[1,1,0]
	v_pk_fma_f32 v[168:169], v[168:169], v[62:63], v[176:177] op_sel:[0,0,1] op_sel_hi:[1,0,0] neg_lo:[0,0,1] neg_hi:[0,0,1]
	v_fma_f32 v62, v174, v7, -v3
	v_or_b32_e32 v3, 0xb0, v45
	v_mul_lo_u32 v3, v44, v3
	v_pk_mul_f32 v[132:133], v[130:131], v[52:53] op_sel_hi:[1,0]
	v_or_b32_e32 v7, 0xc0, v45
	v_lshlrev_b32_sdwa v11, v230, v3 dst_sel:DWORD dst_unused:UNUSED_PAD src0_sel:DWORD src1_sel:BYTE_0
	v_lshlrev_b32_sdwa v15, v230, v3 dst_sel:DWORD dst_unused:UNUSED_PAD src0_sel:DWORD src1_sel:BYTE_1
	v_bfe_u32 v3, v3, 16, 8
	v_pk_fma_f32 v[128:129], v[130:131], v[62:63], v[132:133] op_sel:[0,0,1] op_sel_hi:[1,1,0]
	v_pk_fma_f32 v[130:131], v[130:131], v[62:63], v[132:133] op_sel:[0,0,1] op_sel_hi:[1,0,0] neg_lo:[0,0,1] neg_hi:[0,0,1]
	v_mul_lo_u32 v7, v44, v7
	v_lshl_or_b32 v3, v3, 3, v229
	global_load_dwordx2 v[44:45], v11, s[4:5]
	global_load_dwordx2 v[132:133], v15, s[4:5] offset:2048
	global_load_dwordx2 v[134:135], v3, s[4:5]
	v_lshlrev_b32_sdwa v3, v230, v7 dst_sel:DWORD dst_unused:UNUSED_PAD src0_sel:DWORD src1_sel:BYTE_0
	global_load_dwordx2 v[136:137], v3, s[4:5]
	v_mov_b32_e32 v15, v17
	v_mov_b32_e32 v167, v169
	v_pk_add_f32 v[46:47], v[46:47], v[72:73]
	v_mov_b32_e32 v129, v131
	v_pk_add_f32 v[46:47], v[76:77], v[46:47]
	v_pk_add_f32 v[46:47], v[80:81], v[46:47]
	;; [unrolled: 1-line block ×5, first 2 shown]
	s_waitcnt vmcnt(2)
	v_mul_f32_e32 v3, v45, v132
	v_fmac_f32_e32 v3, v44, v133
	v_pk_mul_f32 v[44:45], v[44:45], v[132:133]
	v_sub_f32_e32 v11, v44, v45
	s_waitcnt vmcnt(1)
	v_mul_f32_e32 v44, v11, v135
	v_fmac_f32_e32 v44, v134, v3
	v_mul_f32_e32 v3, v3, v135
	v_fma_f32 v52, v134, v11, -v3
	v_lshlrev_b32_sdwa v3, v230, v7 dst_sel:DWORD dst_unused:UNUSED_PAD src0_sel:DWORD src1_sel:BYTE_1
	global_load_dwordx2 v[98:99], v3, s[4:5] offset:2048
	v_bfe_u32 v3, v7, 16, 8
	v_lshl_or_b32 v3, v3, 3, v229
	global_load_dwordx2 v[104:105], v3, s[4:5]
	v_pk_mul_f32 v[44:45], v[96:97], v[44:45] op_sel_hi:[1,0]
	v_pk_fma_f32 v[100:101], v[96:97], v[52:53], v[44:45] op_sel:[0,0,1] op_sel_hi:[1,1,0]
	v_pk_fma_f32 v[44:45], v[96:97], v[52:53], v[44:45] op_sel:[0,0,1] op_sel_hi:[1,0,0] neg_lo:[0,0,1] neg_hi:[0,0,1]
	v_mov_b32_e32 v11, v13
	v_cmp_gt_u32_e64 s[4:5], 57, v0
	v_mov_b32_e32 v101, v45
	s_waitcnt vmcnt(1)
	v_pk_mul_f32 v[96:97], v[136:137], v[98:99]
	v_mul_f32_e32 v3, v137, v98
	v_sub_f32_e32 v7, v96, v97
	v_fmac_f32_e32 v3, v136, v99
	s_waitcnt vmcnt(0)
	v_mul_f32_e32 v44, v7, v105
	v_fmac_f32_e32 v44, v104, v3
	v_mul_f32_e32 v3, v3, v105
	v_fma_f32 v52, v104, v7, -v3
	v_mov_b32_e32 v3, v4
	v_add_lshl_u32 v4, v42, v43, 3
	v_cndmask_b32_e64 v4, -1, v4, s[2:3]
	buffer_store_dwordx2 v[2:3], v4, s[8:11], s13 offen
	v_mul_lo_u32 v2, s12, v228
	v_add_lshl_u32 v2, v42, v2, 3
	v_mov_b32_e32 v7, v9
	v_cndmask_b32_e64 v2, -1, v2, s[2:3]
	buffer_store_dwordx2 v[6:7], v2, s[8:11], s13 offen
	v_mul_lo_u32 v2, s12, v5
	v_add_lshl_u32 v2, v42, v2, 3
	v_cndmask_b32_e64 v2, -1, v2, s[2:3]
	buffer_store_dwordx2 v[10:11], v2, s[8:11], s13 offen
	v_mul_lo_u32 v2, s12, v231
	v_add_lshl_u32 v2, v42, v2, 3
	;; [unrolled: 4-line block ×11, first 2 shown]
	v_cndmask_b32_e64 v2, -1, v2, s[2:3]
	buffer_store_dwordx2 v[54:55], v2, s[8:11], s13 offen
	v_lshrrev_b32_e32 v2, 4, v1
	v_cmp_lt_u32_e64 s[2:3], 56, v0
	v_mul_u32_u24_e32 v2, 0xc0, v2
	v_cndmask_b32_e64 v0, 0, 1, s[4:5]
	v_cndmask_b32_e64 v3, 0, 1, s[0:1]
	s_or_b64 vcc, s[2:3], vcc
	v_or_b32_e32 v1, v2, v1
	v_cndmask_b32_e32 v0, v3, v0, vcc
	v_mul_lo_u32 v2, s12, v1
	v_and_b32_e32 v0, 1, v0
	v_add_lshl_u32 v2, v42, v2, 3
	v_cmp_eq_u32_e32 vcc, 1, v0
	v_cndmask_b32_e32 v0, -1, v2, vcc
	buffer_store_dwordx2 v[38:39], v0, s[8:11], s13 offen
	v_add_u32_e32 v0, 16, v1
	v_mul_lo_u32 v0, s12, v0
	v_add_lshl_u32 v0, v42, v0, 3
	v_cndmask_b32_e32 v0, -1, v0, vcc
	buffer_store_dwordx2 v[48:49], v0, s[8:11], s13 offen
	v_or_b32_e32 v0, 32, v1
	v_mul_lo_u32 v0, s12, v0
	v_add_lshl_u32 v0, v42, v0, 3
	v_cndmask_b32_e32 v0, -1, v0, vcc
	buffer_store_dwordx2 v[50:51], v0, s[8:11], s13 offen
	v_add_u32_e32 v0, 48, v1
	v_mul_lo_u32 v0, s12, v0
	v_add_lshl_u32 v0, v42, v0, 3
	v_cndmask_b32_e32 v0, -1, v0, vcc
	buffer_store_dwordx2 v[120:121], v0, s[8:11], s13 offen
	v_add_u32_e32 v0, 64, v1
	;; [unrolled: 5-line block ×10, first 2 shown]
	v_pk_mul_f32 v[70:71], v[46:47], v[44:45] op_sel_hi:[1,0]
	v_mul_lo_u32 v0, s12, v0
	v_pk_fma_f32 v[72:73], v[46:47], v[52:53], v[70:71] op_sel:[0,0,1] op_sel_hi:[1,1,0]
	v_pk_fma_f32 v[46:47], v[46:47], v[52:53], v[70:71] op_sel:[0,0,1] op_sel_hi:[1,0,0] neg_lo:[0,0,1] neg_hi:[0,0,1]
	v_add_lshl_u32 v0, v42, v0, 3
	v_mov_b32_e32 v73, v47
	v_cndmask_b32_e32 v0, -1, v0, vcc
	buffer_store_dwordx2 v[72:73], v0, s[8:11], s13 offen
	s_endpgm
	.section	.rodata,"a",@progbits
	.p2align	6, 0x0
	.amdhsa_kernel fft_rtc_back_len208_factors_2_8_13_wgs_247_tpt_13_dim3_sp_ip_CI_sbcc_twdbase8_3step_dirReg_intrinsicReadWrite
		.amdhsa_group_segment_fixed_size 0
		.amdhsa_private_segment_fixed_size 0
		.amdhsa_kernarg_size 88
		.amdhsa_user_sgpr_count 6
		.amdhsa_user_sgpr_private_segment_buffer 1
		.amdhsa_user_sgpr_dispatch_ptr 0
		.amdhsa_user_sgpr_queue_ptr 0
		.amdhsa_user_sgpr_kernarg_segment_ptr 1
		.amdhsa_user_sgpr_dispatch_id 0
		.amdhsa_user_sgpr_flat_scratch_init 0
		.amdhsa_user_sgpr_kernarg_preload_length 0
		.amdhsa_user_sgpr_kernarg_preload_offset 0
		.amdhsa_user_sgpr_private_segment_size 0
		.amdhsa_uses_dynamic_stack 0
		.amdhsa_system_sgpr_private_segment_wavefront_offset 0
		.amdhsa_system_sgpr_workgroup_id_x 1
		.amdhsa_system_sgpr_workgroup_id_y 0
		.amdhsa_system_sgpr_workgroup_id_z 0
		.amdhsa_system_sgpr_workgroup_info 0
		.amdhsa_system_vgpr_workitem_id 0
		.amdhsa_next_free_vgpr 244
		.amdhsa_next_free_sgpr 50
		.amdhsa_accum_offset 244
		.amdhsa_reserve_vcc 1
		.amdhsa_reserve_flat_scratch 0
		.amdhsa_float_round_mode_32 0
		.amdhsa_float_round_mode_16_64 0
		.amdhsa_float_denorm_mode_32 3
		.amdhsa_float_denorm_mode_16_64 3
		.amdhsa_dx10_clamp 1
		.amdhsa_ieee_mode 1
		.amdhsa_fp16_overflow 0
		.amdhsa_tg_split 0
		.amdhsa_exception_fp_ieee_invalid_op 0
		.amdhsa_exception_fp_denorm_src 0
		.amdhsa_exception_fp_ieee_div_zero 0
		.amdhsa_exception_fp_ieee_overflow 0
		.amdhsa_exception_fp_ieee_underflow 0
		.amdhsa_exception_fp_ieee_inexact 0
		.amdhsa_exception_int_div_zero 0
	.end_amdhsa_kernel
	.text
.Lfunc_end0:
	.size	fft_rtc_back_len208_factors_2_8_13_wgs_247_tpt_13_dim3_sp_ip_CI_sbcc_twdbase8_3step_dirReg_intrinsicReadWrite, .Lfunc_end0-fft_rtc_back_len208_factors_2_8_13_wgs_247_tpt_13_dim3_sp_ip_CI_sbcc_twdbase8_3step_dirReg_intrinsicReadWrite
                                        ; -- End function
	.section	.AMDGPU.csdata,"",@progbits
; Kernel info:
; codeLenInByte = 14028
; NumSgprs: 54
; NumVgprs: 244
; NumAgprs: 0
; TotalNumVgprs: 244
; ScratchSize: 0
; MemoryBound: 0
; FloatMode: 240
; IeeeMode: 1
; LDSByteSize: 0 bytes/workgroup (compile time only)
; SGPRBlocks: 6
; VGPRBlocks: 30
; NumSGPRsForWavesPerEU: 54
; NumVGPRsForWavesPerEU: 244
; AccumOffset: 244
; Occupancy: 2
; WaveLimiterHint : 0
; COMPUTE_PGM_RSRC2:SCRATCH_EN: 0
; COMPUTE_PGM_RSRC2:USER_SGPR: 6
; COMPUTE_PGM_RSRC2:TRAP_HANDLER: 0
; COMPUTE_PGM_RSRC2:TGID_X_EN: 1
; COMPUTE_PGM_RSRC2:TGID_Y_EN: 0
; COMPUTE_PGM_RSRC2:TGID_Z_EN: 0
; COMPUTE_PGM_RSRC2:TIDIG_COMP_CNT: 0
; COMPUTE_PGM_RSRC3_GFX90A:ACCUM_OFFSET: 60
; COMPUTE_PGM_RSRC3_GFX90A:TG_SPLIT: 0
	.text
	.p2alignl 6, 3212836864
	.fill 256, 4, 3212836864
	.type	__hip_cuid_ad0ca9a17eda912b,@object ; @__hip_cuid_ad0ca9a17eda912b
	.section	.bss,"aw",@nobits
	.globl	__hip_cuid_ad0ca9a17eda912b
__hip_cuid_ad0ca9a17eda912b:
	.byte	0                               ; 0x0
	.size	__hip_cuid_ad0ca9a17eda912b, 1

	.ident	"AMD clang version 19.0.0git (https://github.com/RadeonOpenCompute/llvm-project roc-6.4.0 25133 c7fe45cf4b819c5991fe208aaa96edf142730f1d)"
	.section	".note.GNU-stack","",@progbits
	.addrsig
	.addrsig_sym __hip_cuid_ad0ca9a17eda912b
	.amdgpu_metadata
---
amdhsa.kernels:
  - .agpr_count:     0
    .args:
      - .actual_access:  read_only
        .address_space:  global
        .offset:         0
        .size:           8
        .value_kind:     global_buffer
      - .address_space:  global
        .offset:         8
        .size:           8
        .value_kind:     global_buffer
      - .actual_access:  read_only
        .address_space:  global
        .offset:         16
        .size:           8
        .value_kind:     global_buffer
      - .actual_access:  read_only
        .address_space:  global
        .offset:         24
        .size:           8
        .value_kind:     global_buffer
      - .offset:         32
        .size:           8
        .value_kind:     by_value
      - .actual_access:  read_only
        .address_space:  global
        .offset:         40
        .size:           8
        .value_kind:     global_buffer
      - .actual_access:  read_only
        .address_space:  global
        .offset:         48
        .size:           8
        .value_kind:     global_buffer
      - .offset:         56
        .size:           4
        .value_kind:     by_value
      - .actual_access:  read_only
        .address_space:  global
        .offset:         64
        .size:           8
        .value_kind:     global_buffer
      - .actual_access:  read_only
        .address_space:  global
        .offset:         72
        .size:           8
        .value_kind:     global_buffer
      - .address_space:  global
        .offset:         80
        .size:           8
        .value_kind:     global_buffer
    .group_segment_fixed_size: 0
    .kernarg_segment_align: 8
    .kernarg_segment_size: 88
    .language:       OpenCL C
    .language_version:
      - 2
      - 0
    .max_flat_workgroup_size: 247
    .name:           fft_rtc_back_len208_factors_2_8_13_wgs_247_tpt_13_dim3_sp_ip_CI_sbcc_twdbase8_3step_dirReg_intrinsicReadWrite
    .private_segment_fixed_size: 0
    .sgpr_count:     54
    .sgpr_spill_count: 0
    .symbol:         fft_rtc_back_len208_factors_2_8_13_wgs_247_tpt_13_dim3_sp_ip_CI_sbcc_twdbase8_3step_dirReg_intrinsicReadWrite.kd
    .uniform_work_group_size: 1
    .uses_dynamic_stack: false
    .vgpr_count:     244
    .vgpr_spill_count: 0
    .wavefront_size: 64
amdhsa.target:   amdgcn-amd-amdhsa--gfx90a
amdhsa.version:
  - 1
  - 2
...

	.end_amdgpu_metadata
